;; amdgpu-corpus repo=zjin-lcf/HeCBench kind=compiled arch=gfx906 opt=O3
	.amdgcn_target "amdgcn-amd-amdhsa--gfx906"
	.amdhsa_code_object_version 6
	.text
	.p2align	2                               ; -- Begin function _Z13ht_get_atomicP6loc_ht9cstr_typej
	.type	_Z13ht_get_atomicP6loc_ht9cstr_typej,@function
_Z13ht_get_atomicP6loc_ht9cstr_typej:   ; @_Z13ht_get_atomicP6loc_ht9cstr_typej
; %bb.0:
	s_waitcnt vmcnt(0) expcnt(0) lgkmcnt(0)
	v_and_b32_e32 v9, 3, v2
	v_cmp_eq_u32_e64 s[4:5], 0, v9
	v_cmp_gt_i32_e64 s[6:7], 4, v4
	v_mov_b32_e32 v6, v5
	v_xor_b32_e32 v5, 0x3fb0bb5f, v4
	v_cmp_lt_i32_e32 vcc, 3, v4
	s_or_b64 s[4:5], s[4:5], s[6:7]
	s_and_saveexec_b64 s[6:7], s[4:5]
	s_xor_b64 s[4:5], exec, s[6:7]
	s_cbranch_execz .LBB0_10
; %bb.1:
	v_mov_b32_e32 v8, v3
	v_mov_b32_e32 v9, v4
	;; [unrolled: 1-line block ×3, first 2 shown]
	s_and_saveexec_b64 s[6:7], vcc
	s_cbranch_execz .LBB0_5
; %bb.2:
	v_mov_b32_e32 v8, v3
	s_mov_b64 s[10:11], 0
	s_mov_b32 s12, 0x5bd1e995
	v_mov_b32_e32 v9, v4
	v_mov_b32_e32 v7, v2
.LBB0_3:                                ; =>This Inner Loop Header: Depth=1
	flat_load_dword v10, v[7:8]
	v_mov_b32_e32 v11, v9
	v_mul_lo_u32 v5, v5, s12
	v_add_co_u32_e32 v7, vcc, 4, v7
	v_addc_co_u32_e32 v8, vcc, 0, v8, vcc
	v_cmp_gt_u32_e32 vcc, 8, v11
	s_or_b64 s[10:11], vcc, s[10:11]
	s_waitcnt vmcnt(0) lgkmcnt(0)
	v_mul_lo_u32 v9, v10, s12
	v_xor_b32_sdwa v9, v9, v9 dst_sel:DWORD dst_unused:UNUSED_PAD src0_sel:BYTE_3 src1_sel:DWORD
	v_mul_lo_u32 v10, v9, s12
	v_add_u32_e32 v9, -4, v11
	v_xor_b32_e32 v5, v10, v5
	s_andn2_b64 exec, exec, s[10:11]
	s_cbranch_execnz .LBB0_3
; %bb.4:
	s_or_b64 exec, exec, s[10:11]
.LBB0_5:
	s_or_b64 exec, exec, s[6:7]
	v_cmp_lt_i32_e32 vcc, 1, v9
	s_mov_b64 s[6:7], 0
                                        ; implicit-def: $vgpr10
	s_and_saveexec_b64 s[10:11], vcc
	s_xor_b64 s[10:11], exec, s[10:11]
	s_cbranch_execnz .LBB0_483
; %bb.6:
	s_andn2_saveexec_b64 s[10:11], s[10:11]
	s_cbranch_execnz .LBB0_486
.LBB0_7:
	s_or_b64 exec, exec, s[10:11]
	s_and_saveexec_b64 s[10:11], s[6:7]
	s_cbranch_execz .LBB0_9
.LBB0_8:
	flat_load_ubyte v5, v[7:8]
	s_mov_b32 s6, 0x5bd1e995
	s_waitcnt vmcnt(0) lgkmcnt(0)
	v_xor_b32_e32 v5, v10, v5
	v_mul_lo_u32 v5, v5, s6
.LBB0_9:
	s_or_b64 exec, exec, s[10:11]
                                        ; implicit-def: $vgpr9
.LBB0_10:
	s_andn2_saveexec_b64 s[4:5], s[4:5]
	s_cbranch_execz .LBB0_36
; %bb.11:
	v_cmp_gt_i32_e32 vcc, 3, v9
	v_mov_b32_e32 v12, 0
	s_and_saveexec_b64 s[6:7], vcc
	s_cbranch_execz .LBB0_15
; %bb.12:
	v_cmp_ne_u32_e32 vcc, 2, v9
	v_mov_b32_e32 v7, 0
	s_and_saveexec_b64 s[10:11], vcc
	s_cbranch_execz .LBB0_14
; %bb.13:
	flat_load_ubyte v7, v[2:3] offset:2
	s_waitcnt vmcnt(0) lgkmcnt(0)
	v_lshlrev_b32_e32 v7, 16, v7
.LBB0_14:
	s_or_b64 exec, exec, s[10:11]
	flat_load_ubyte v8, v[2:3] offset:1
	s_waitcnt vmcnt(0) lgkmcnt(0)
	v_lshl_or_b32 v12, v8, 8, v7
.LBB0_15:
	s_or_b64 exec, exec, s[6:7]
	flat_load_ubyte v14, v[2:3]
	v_sub_u32_e32 v11, 4, v9
	v_add_co_u32_e32 v7, vcc, v2, v11
	v_lshlrev_b32_e32 v10, 3, v9
	v_addc_co_u32_e32 v8, vcc, 0, v3, vcc
	v_sub_u32_e32 v13, v4, v11
	v_lshlrev_b32_e32 v11, 3, v11
	v_cmp_lt_u32_e32 vcc, 3, v13
	s_waitcnt vmcnt(0) lgkmcnt(0)
	v_or_b32_e32 v12, v12, v14
	v_lshlrev_b32_e32 v12, v10, v12
	s_and_saveexec_b64 s[6:7], vcc
	s_cbranch_execz .LBB0_19
; %bb.16:
	v_add_u32_e32 v15, v4, v9
	s_mov_b64 s[10:11], 0
	s_mov_b32 s12, 0x5bd1e995
.LBB0_17:                               ; =>This Inner Loop Header: Depth=1
	flat_load_dword v14, v[7:8]
	v_lshrrev_b32_e32 v12, v10, v12
	v_mul_lo_u32 v5, v5, s12
	v_mov_b32_e32 v13, v15
	v_add_co_u32_e32 v7, vcc, 4, v7
	v_addc_co_u32_e32 v8, vcc, 0, v8, vcc
	v_add_u32_e32 v15, -4, v13
	v_cmp_gt_u32_e32 vcc, 8, v15
	s_or_b64 s[10:11], vcc, s[10:11]
	s_waitcnt vmcnt(0) lgkmcnt(0)
	v_lshl_or_b32 v12, v14, v11, v12
	v_mul_lo_u32 v12, v12, s12
	v_xor_b32_sdwa v12, v12, v12 dst_sel:DWORD dst_unused:UNUSED_PAD src0_sel:BYTE_3 src1_sel:DWORD
	v_mul_lo_u32 v16, v12, s12
	v_mov_b32_e32 v12, v14
	v_xor_b32_e32 v5, v16, v5
	s_andn2_b64 exec, exec, s[10:11]
	s_cbranch_execnz .LBB0_17
; %bb.18:
	s_or_b64 exec, exec, s[10:11]
	v_add_u32_e32 v13, -8, v13
	v_mov_b32_e32 v12, v14
.LBB0_19:
	s_or_b64 exec, exec, s[6:7]
	v_cmp_ge_u32_e32 vcc, v13, v9
	s_and_saveexec_b64 s[6:7], vcc
	s_xor_b64 s[6:7], exec, s[6:7]
	s_cbranch_execz .LBB0_29
; %bb.20:
	v_cmp_lt_i32_e32 vcc, 2, v9
	s_mov_b64 s[10:11], 0
                                        ; implicit-def: $vgpr14
	s_and_saveexec_b64 s[12:13], vcc
	s_xor_b64 s[12:13], exec, s[12:13]
	s_cbranch_execnz .LBB0_487
; %bb.21:
	s_andn2_saveexec_b64 s[12:13], s[12:13]
	s_cbranch_execnz .LBB0_488
.LBB0_22:
	s_or_b64 exec, exec, s[12:13]
	v_mov_b32_e32 v15, 0
	s_and_saveexec_b64 s[12:13], s[10:11]
	s_cbranch_execz .LBB0_24
.LBB0_23:
	flat_load_ubyte v15, v[7:8] offset:1
	s_waitcnt vmcnt(0) lgkmcnt(0)
	v_lshl_or_b32 v15, v15, 8, v14
.LBB0_24:
	s_or_b64 exec, exec, s[12:13]
	flat_load_ubyte v14, v[7:8]
	v_lshrrev_b32_e32 v10, v10, v12
	s_mov_b32 s10, 0x5bd1e995
	v_mul_lo_u32 v5, v5, s10
	s_waitcnt vmcnt(0) lgkmcnt(0)
	v_or_b32_e32 v12, v15, v14
	v_lshl_or_b32 v10, v12, v11, v10
	v_mul_lo_u32 v11, v10, s10
	v_sub_u32_e32 v10, v13, v9
	v_and_b32_e32 v12, 3, v2
	v_add_co_u32_e32 v7, vcc, v7, v12
	v_xor_b32_sdwa v9, v11, v11 dst_sel:DWORD dst_unused:UNUSED_PAD src0_sel:BYTE_3 src1_sel:DWORD
	v_mul_lo_u32 v9, v9, s10
	v_addc_co_u32_e32 v8, vcc, 0, v8, vcc
	v_cmp_lt_i32_e32 vcc, 1, v10
	v_xor_b32_e32 v5, v9, v5
	s_mov_b64 s[10:11], 0
                                        ; implicit-def: $vgpr9
	s_and_saveexec_b64 s[12:13], vcc
	s_xor_b64 s[12:13], exec, s[12:13]
	s_cbranch_execnz .LBB0_489
; %bb.25:
	s_andn2_saveexec_b64 s[12:13], s[12:13]
	s_cbranch_execnz .LBB0_490
.LBB0_26:
	s_or_b64 exec, exec, s[12:13]
	s_and_saveexec_b64 s[12:13], s[10:11]
	s_cbranch_execz .LBB0_28
.LBB0_27:
	flat_load_ubyte v5, v[7:8]
	s_mov_b32 s10, 0x5bd1e995
	s_waitcnt vmcnt(0) lgkmcnt(0)
	v_xor_b32_e32 v5, v9, v5
	v_mul_lo_u32 v5, v5, s10
.LBB0_28:
	s_or_b64 exec, exec, s[12:13]
                                        ; implicit-def: $vgpr13
                                        ; implicit-def: $vgpr10
                                        ; implicit-def: $vgpr12
                                        ; implicit-def: $vgpr11
                                        ; implicit-def: $vgpr7_vgpr8
.LBB0_29:
	s_andn2_saveexec_b64 s[6:7], s[6:7]
	s_cbranch_execz .LBB0_35
; %bb.30:
	v_cmp_lt_i32_e32 vcc, 1, v13
	s_mov_b64 s[10:11], 0
                                        ; implicit-def: $vgpr9
	s_and_saveexec_b64 s[12:13], vcc
	s_xor_b64 s[12:13], exec, s[12:13]
	s_cbranch_execnz .LBB0_491
; %bb.31:
	s_andn2_saveexec_b64 s[12:13], s[12:13]
	s_cbranch_execnz .LBB0_492
.LBB0_32:
	s_or_b64 exec, exec, s[12:13]
	s_and_saveexec_b64 s[12:13], s[10:11]
	s_cbranch_execz .LBB0_34
.LBB0_33:
	flat_load_ubyte v7, v[7:8]
	s_waitcnt vmcnt(0) lgkmcnt(0)
	v_or_b32_e32 v13, v9, v7
.LBB0_34:
	s_or_b64 exec, exec, s[12:13]
	v_lshrrev_b32_e32 v7, v10, v12
	v_lshl_or_b32 v7, v13, v11, v7
	v_xor_b32_e32 v5, v7, v5
	s_mov_b32 s10, 0x5bd1e995
	v_mul_lo_u32 v5, v5, s10
.LBB0_35:
	s_or_b64 exec, exec, s[6:7]
.LBB0_36:
	s_or_b64 exec, exec, s[4:5]
	v_cvt_f32_u32_e32 v7, v6
	v_sub_u32_e32 v9, 0, v6
	v_lshrrev_b32_e32 v8, 13, v5
	s_mov_b32 s13, 0x5bd1e995
	v_rcp_iflag_f32_e32 v7, v7
	v_xor_b32_e32 v5, v8, v5
	v_mul_lo_u32 v8, v5, s13
	s_getpc_b64 s[10:11]
	s_add_u32 s10, s10, .str.2@rel32@lo+4
	s_addc_u32 s11, s11, .str.2@rel32@hi+12
	v_mul_f32_e32 v7, 0x4f7ffffe, v7
	v_cvt_u32_f32_e32 v7, v7
	v_lshrrev_b32_e32 v11, 15, v8
	v_xor_b32_e32 v8, v11, v8
	s_cmp_lg_u64 s[10:11], 0
	v_mul_lo_u32 v9, v9, v7
	s_mov_b32 s12, 0
	v_cmp_lt_i32_e64 s[4:5], 0, v4
	s_mov_b64 s[6:7], 0
	v_mul_hi_u32 v10, v7, v9
	v_mov_b32_e32 v5, -1
	v_mov_b32_e32 v9, 0
	s_movk_i32 s44, 0xff1d
	v_add_u32_e32 v7, v7, v10
	v_mul_hi_u32 v7, v8, v7
	v_mbcnt_lo_u32_b32 v10, -1, 0
	v_mov_b32_e32 v12, 2
	v_mbcnt_hi_u32_b32 v38, -1, v10
	v_mul_lo_u32 v7, v7, v6
	s_cselect_b64 s[10:11], -1, 0
	v_mov_b32_e32 v13, 1
                                        ; implicit-def: $vgpr49
	v_sub_u32_e32 v7, v8, v7
	v_sub_u32_e32 v8, v7, v6
	v_cmp_ge_u32_e32 vcc, v7, v6
	v_cndmask_b32_e32 v7, v7, v8, vcc
	v_sub_u32_e32 v8, v7, v6
	v_cmp_ge_u32_e32 vcc, v7, v6
	v_cndmask_b32_e32 v39, v7, v8, vcc
	v_mov_b32_e32 v7, 33
	v_mov_b32_e32 v8, v39
	s_branch .LBB0_39
.LBB0_37:                               ;   in Loop: Header=BB0_39 Depth=1
                                        ; implicit-def: $sgpr14_sgpr15
                                        ; implicit-def: $vgpr49
                                        ; implicit-def: $vgpr8
	s_mov_b64 s[18:19], -1
.LBB0_38:                               ;   in Loop: Header=BB0_39 Depth=1
	s_andn2_b64 s[6:7], s[6:7], exec
	s_and_b64 s[14:15], s[14:15], exec
	s_and_b64 vcc, exec, s[18:19]
	s_or_b64 s[6:7], s[6:7], s[14:15]
	s_cbranch_vccnz .LBB0_482
.LBB0_39:                               ; =>This Loop Header: Depth=1
                                        ;     Child Loop BB0_48 Depth 2
                                        ;     Child Loop BB0_60 Depth 2
	;; [unrolled: 1-line block ×10, first 2 shown]
                                        ;       Child Loop BB0_89 Depth 3
                                        ;       Child Loop BB0_97 Depth 3
	;; [unrolled: 1-line block ×11, first 2 shown]
                                        ;     Child Loop BB0_200 Depth 2
                                        ;     Child Loop BB0_208 Depth 2
	;; [unrolled: 1-line block ×9, first 2 shown]
                                        ;       Child Loop BB0_229 Depth 3
                                        ;       Child Loop BB0_237 Depth 3
	;; [unrolled: 1-line block ×11, first 2 shown]
                                        ;     Child Loop BB0_340 Depth 2
                                        ;     Child Loop BB0_348 Depth 2
	;; [unrolled: 1-line block ×9, first 2 shown]
                                        ;       Child Loop BB0_369 Depth 3
                                        ;       Child Loop BB0_377 Depth 3
	;; [unrolled: 1-line block ×11, first 2 shown]
	v_cndmask_b32_e64 v10, 0, 1, s[6:7]
	v_cmp_ne_u32_e32 vcc, 0, v10
	s_cmp_eq_u64 vcc, exec
	v_mov_b32_e32 v48, v8
	s_cbranch_scc1 .LBB0_37
; %bb.40:                               ;   in Loop: Header=BB0_39 Depth=1
	s_xor_b64 s[6:7], s[6:7], -1
	s_and_saveexec_b64 s[16:17], s[6:7]
	s_cbranch_execz .LBB0_44
; %bb.41:                               ;   in Loop: Header=BB0_39 Depth=1
	v_mad_u64_u32 v[10:11], s[14:15], v8, 56, v[0:1]
	flat_atomic_cmpswap v49, v[10:11], v[4:5] offset:8 glc
	s_waitcnt vmcnt(0) lgkmcnt(0)
	v_cmp_eq_u32_e32 vcc, -1, v49
	s_and_saveexec_b64 s[18:19], vcc
	s_cbranch_execz .LBB0_43
; %bb.42:                               ;   in Loop: Header=BB0_39 Depth=1
	s_mov_b32 s15, s12
	s_mov_b32 s13, s12
	;; [unrolled: 1-line block ×3, first 2 shown]
	v_mov_b32_e32 v17, s15
	v_mov_b32_e32 v16, s14
	;; [unrolled: 1-line block ×4, first 2 shown]
	v_mov_b32_e32 v49, -1
	flat_store_dwordx2 v[10:11], v[2:3]
	flat_store_dwordx4 v[10:11], v[14:17] offset:16
	flat_store_dwordx4 v[10:11], v[14:17] offset:32
	;; [unrolled: 1-line block ×3, first 2 shown]
.LBB0_43:                               ;   in Loop: Header=BB0_39 Depth=1
	s_or_b64 exec, exec, s[18:19]
.LBB0_44:                               ;   in Loop: Header=BB0_39 Depth=1
	s_or_b64 exec, exec, s[16:17]
	v_cmp_ne_u32_e32 vcc, -1, v49
	s_mov_b64 s[14:15], -1
	s_and_b64 s[18:19], s[6:7], vcc
	s_mov_b64 s[16:17], 0
	s_and_saveexec_b64 s[6:7], s[18:19]
	s_cbranch_execz .LBB0_54
; %bb.45:                               ;   in Loop: Header=BB0_39 Depth=1
	v_mad_u64_u32 v[10:11], s[14:15], v8, 56, v[0:1]
	s_mov_b64 s[16:17], -1
	s_waitcnt vmcnt(0)
	flat_load_dword v16, v[10:11] offset:8
	s_waitcnt vmcnt(0) lgkmcnt(0)
	v_cmp_ne_u32_e32 vcc, -1, v16
	s_and_b64 s[18:19], vcc, s[4:5]
	s_and_saveexec_b64 s[14:15], s[18:19]
	s_cbranch_execz .LBB0_51
; %bb.46:                               ;   in Loop: Header=BB0_39 Depth=1
	flat_load_dwordx2 v[10:11], v[10:11]
	v_mov_b32_e32 v15, v3
	s_mov_b64 s[16:17], 0
	v_mov_b32_e32 v14, v2
	v_mov_b32_e32 v17, v4
                                        ; implicit-def: $sgpr18_sgpr19
                                        ; implicit-def: $sgpr22_sgpr23
                                        ; implicit-def: $sgpr20_sgpr21
	s_branch .LBB0_48
.LBB0_47:                               ;   in Loop: Header=BB0_48 Depth=2
	s_or_b64 exec, exec, s[24:25]
	s_xor_b64 s[24:25], s[20:21], -1
	s_and_b64 s[26:27], exec, s[22:23]
	s_or_b64 s[16:17], s[26:27], s[16:17]
	s_andn2_b64 s[18:19], s[18:19], exec
	s_and_b64 s[24:25], s[24:25], exec
	s_or_b64 s[18:19], s[18:19], s[24:25]
	s_andn2_b64 exec, exec, s[16:17]
	s_cbranch_execz .LBB0_50
.LBB0_48:                               ;   Parent Loop BB0_39 Depth=1
                                        ; =>  This Inner Loop Header: Depth=2
	s_waitcnt vmcnt(0) lgkmcnt(0)
	flat_load_ubyte v18, v[10:11]
	flat_load_ubyte v19, v[14:15]
	s_or_b64 s[20:21], s[20:21], exec
	s_or_b64 s[22:23], s[22:23], exec
	s_waitcnt vmcnt(0) lgkmcnt(0)
	v_cmp_eq_u16_e32 vcc, v18, v19
	s_and_saveexec_b64 s[24:25], vcc
	s_cbranch_execz .LBB0_47
; %bb.49:                               ;   in Loop: Header=BB0_48 Depth=2
	v_add_co_u32_e32 v14, vcc, 1, v14
	v_addc_co_u32_e32 v15, vcc, 0, v15, vcc
	v_add_co_u32_e32 v10, vcc, 1, v10
	v_add_u32_e32 v17, -1, v17
	v_addc_co_u32_e32 v11, vcc, 0, v11, vcc
	v_cmp_eq_u32_e32 vcc, 0, v17
	s_andn2_b64 s[22:23], s[22:23], exec
	s_and_b64 s[26:27], vcc, exec
	s_andn2_b64 s[20:21], s[20:21], exec
	s_or_b64 s[22:23], s[22:23], s[26:27]
	s_branch .LBB0_47
.LBB0_50:                               ;   in Loop: Header=BB0_39 Depth=1
	s_or_b64 exec, exec, s[16:17]
	s_orn2_b64 s[16:17], s[18:19], exec
.LBB0_51:                               ;   in Loop: Header=BB0_39 Depth=1
	s_or_b64 exec, exec, s[14:15]
	s_mov_b64 s[14:15], 0
	s_and_saveexec_b64 s[18:19], s[16:17]
; %bb.52:                               ;   in Loop: Header=BB0_39 Depth=1
	v_cmp_eq_u32_e32 vcc, v16, v4
	s_and_b64 s[14:15], vcc, exec
; %bb.53:                               ;   in Loop: Header=BB0_39 Depth=1
	s_or_b64 exec, exec, s[18:19]
	s_xor_b64 s[16:17], s[14:15], -1
	s_orn2_b64 s[14:15], s[14:15], exec
	s_and_b64 s[16:17], s[16:17], exec
.LBB0_54:                               ;   in Loop: Header=BB0_39 Depth=1
	s_or_b64 exec, exec, s[6:7]
	v_cndmask_b32_e64 v10, 0, 1, s[14:15]
	v_cmp_ne_u32_e32 vcc, 0, v10
	s_cmp_eq_u64 vcc, exec
	s_mov_b64 s[18:19], -1
                                        ; implicit-def: $sgpr14_sgpr15
	s_cbranch_scc1 .LBB0_481
; %bb.55:                               ;   in Loop: Header=BB0_39 Depth=1
	s_mov_b64 s[14:15], -1
	s_and_saveexec_b64 s[6:7], s[16:17]
	s_xor_b64 s[16:17], exec, s[6:7]
	s_cbranch_execz .LBB0_480
; %bb.56:                               ;   in Loop: Header=BB0_39 Depth=1
	v_add_u32_e32 v8, 1, v8
	v_cmp_ne_u32_e32 vcc, v8, v6
	v_cndmask_b32_e32 v8, 0, v8, vcc
	v_cmp_eq_u32_e32 vcc, v8, v39
	s_mov_b64 s[6:7], 0
	s_and_saveexec_b64 s[18:19], vcc
	s_cbranch_execz .LBB0_479
; %bb.57:                               ;   in Loop: Header=BB0_39 Depth=1
	s_load_dwordx2 s[20:21], s[8:9], 0x50
	v_readfirstlane_b32 s6, v38
	v_mov_b32_e32 v10, 0
	v_mov_b32_e32 v11, 0
	v_cmp_eq_u32_e64 s[6:7], s6, v38
	s_and_saveexec_b64 s[14:15], s[6:7]
	s_cbranch_execz .LBB0_63
; %bb.58:                               ;   in Loop: Header=BB0_39 Depth=1
	s_waitcnt lgkmcnt(0)
	global_load_dwordx2 v[16:17], v9, s[20:21] offset:24 glc
	s_waitcnt vmcnt(0)
	buffer_wbinvl1_vol
	global_load_dwordx2 v[10:11], v9, s[20:21] offset:40
	global_load_dwordx2 v[14:15], v9, s[20:21]
	s_waitcnt vmcnt(1)
	v_and_b32_e32 v8, v10, v16
	v_and_b32_e32 v10, v11, v17
	v_mul_lo_u32 v10, v10, 24
	v_mul_hi_u32 v11, v8, 24
	v_mul_lo_u32 v8, v8, 24
	v_add_u32_e32 v11, v11, v10
	s_waitcnt vmcnt(0)
	v_add_co_u32_e32 v10, vcc, v14, v8
	v_addc_co_u32_e32 v11, vcc, v15, v11, vcc
	global_load_dwordx2 v[14:15], v[10:11], off glc
	s_waitcnt vmcnt(0)
	global_atomic_cmpswap_x2 v[10:11], v9, v[14:17], s[20:21] offset:24 glc
	s_waitcnt vmcnt(0)
	buffer_wbinvl1_vol
	v_cmp_ne_u64_e32 vcc, v[10:11], v[16:17]
	s_and_saveexec_b64 s[22:23], vcc
	s_cbranch_execz .LBB0_62
; %bb.59:                               ;   in Loop: Header=BB0_39 Depth=1
	s_mov_b64 s[24:25], 0
.LBB0_60:                               ;   Parent Loop BB0_39 Depth=1
                                        ; =>  This Inner Loop Header: Depth=2
	s_sleep 1
	global_load_dwordx2 v[14:15], v9, s[20:21] offset:40
	global_load_dwordx2 v[18:19], v9, s[20:21]
	v_mov_b32_e32 v17, v11
	v_mov_b32_e32 v16, v10
	s_waitcnt vmcnt(1)
	v_and_b32_e32 v8, v14, v16
	s_waitcnt vmcnt(0)
	v_mad_u64_u32 v[10:11], s[26:27], v8, 24, v[18:19]
	v_and_b32_e32 v14, v15, v17
	v_mov_b32_e32 v8, v11
	v_mad_u64_u32 v[14:15], s[26:27], v14, 24, v[8:9]
	v_mov_b32_e32 v11, v14
	global_load_dwordx2 v[14:15], v[10:11], off glc
	s_waitcnt vmcnt(0)
	global_atomic_cmpswap_x2 v[10:11], v9, v[14:17], s[20:21] offset:24 glc
	s_waitcnt vmcnt(0)
	buffer_wbinvl1_vol
	v_cmp_eq_u64_e32 vcc, v[10:11], v[16:17]
	s_or_b64 s[24:25], vcc, s[24:25]
	s_andn2_b64 exec, exec, s[24:25]
	s_cbranch_execnz .LBB0_60
; %bb.61:                               ;   in Loop: Header=BB0_39 Depth=1
	s_or_b64 exec, exec, s[24:25]
.LBB0_62:                               ;   in Loop: Header=BB0_39 Depth=1
	s_or_b64 exec, exec, s[22:23]
.LBB0_63:                               ;   in Loop: Header=BB0_39 Depth=1
	s_or_b64 exec, exec, s[14:15]
	s_waitcnt lgkmcnt(0)
	global_load_dwordx2 v[18:19], v9, s[20:21] offset:40
	global_load_dwordx4 v[14:17], v9, s[20:21]
	v_readfirstlane_b32 s23, v11
	v_readfirstlane_b32 s22, v10
	s_mov_b64 s[14:15], exec
	s_waitcnt vmcnt(0)
	v_readfirstlane_b32 s24, v18
	v_readfirstlane_b32 s25, v19
	s_and_b64 s[24:25], s[24:25], s[22:23]
	s_mul_i32 s13, s25, 24
	s_mul_hi_u32 s26, s24, 24
	s_mul_i32 s27, s24, 24
	s_add_i32 s13, s26, s13
	v_mov_b32_e32 v8, s13
	v_add_co_u32_e32 v18, vcc, s27, v14
	v_addc_co_u32_e32 v19, vcc, v15, v8, vcc
	s_and_saveexec_b64 s[26:27], s[6:7]
	s_cbranch_execz .LBB0_65
; %bb.64:                               ;   in Loop: Header=BB0_39 Depth=1
	v_mov_b32_e32 v10, s14
	v_mov_b32_e32 v11, s15
	global_store_dwordx4 v[18:19], v[10:13], off offset:8
.LBB0_65:                               ;   in Loop: Header=BB0_39 Depth=1
	s_or_b64 exec, exec, s[26:27]
	s_lshl_b64 s[14:15], s[24:25], 12
	v_mov_b32_e32 v8, s15
	v_add_co_u32_e32 v20, vcc, s14, v16
	s_mov_b32 s15, s12
	v_addc_co_u32_e32 v21, vcc, v17, v8, vcc
	s_mov_b32 s13, s12
	s_mov_b32 s14, s12
	v_mov_b32_e32 v25, s15
	v_lshlrev_b32_e32 v50, 6, v38
	v_mov_b32_e32 v8, v9
	v_mov_b32_e32 v10, v9
	v_readfirstlane_b32 s24, v20
	v_readfirstlane_b32 s25, v21
	v_mov_b32_e32 v24, s14
	v_mov_b32_e32 v23, s13
	;; [unrolled: 1-line block ×3, first 2 shown]
	s_nop 1
	global_store_dwordx4 v50, v[7:10], s[24:25]
	global_store_dwordx4 v50, v[22:25], s[24:25] offset:16
	global_store_dwordx4 v50, v[22:25], s[24:25] offset:32
	;; [unrolled: 1-line block ×3, first 2 shown]
	s_and_saveexec_b64 s[14:15], s[6:7]
	s_cbranch_execz .LBB0_73
; %bb.66:                               ;   in Loop: Header=BB0_39 Depth=1
	global_load_dwordx2 v[24:25], v9, s[20:21] offset:32 glc
	global_load_dwordx2 v[10:11], v9, s[20:21] offset:40
	v_mov_b32_e32 v22, s22
	v_mov_b32_e32 v23, s23
	s_waitcnt vmcnt(0)
	v_and_b32_e32 v8, s22, v10
	v_and_b32_e32 v10, s23, v11
	v_mul_lo_u32 v10, v10, 24
	v_mul_hi_u32 v11, v8, 24
	v_mul_lo_u32 v8, v8, 24
	v_add_u32_e32 v11, v11, v10
	v_add_co_u32_e32 v10, vcc, v14, v8
	v_addc_co_u32_e32 v11, vcc, v15, v11, vcc
	global_store_dwordx2 v[10:11], v[24:25], off
	s_waitcnt vmcnt(0)
	global_atomic_cmpswap_x2 v[16:17], v9, v[22:25], s[20:21] offset:32 glc
	s_waitcnt vmcnt(0)
	v_cmp_ne_u64_e32 vcc, v[16:17], v[24:25]
	s_and_saveexec_b64 s[24:25], vcc
	s_cbranch_execz .LBB0_69
; %bb.67:                               ;   in Loop: Header=BB0_39 Depth=1
	s_mov_b64 s[26:27], 0
.LBB0_68:                               ;   Parent Loop BB0_39 Depth=1
                                        ; =>  This Inner Loop Header: Depth=2
	s_sleep 1
	global_store_dwordx2 v[10:11], v[16:17], off
	v_mov_b32_e32 v14, s22
	v_mov_b32_e32 v15, s23
	s_waitcnt vmcnt(0)
	global_atomic_cmpswap_x2 v[14:15], v9, v[14:17], s[20:21] offset:32 glc
	s_waitcnt vmcnt(0)
	v_cmp_eq_u64_e32 vcc, v[14:15], v[16:17]
	v_mov_b32_e32 v17, v15
	s_or_b64 s[26:27], vcc, s[26:27]
	v_mov_b32_e32 v16, v14
	s_andn2_b64 exec, exec, s[26:27]
	s_cbranch_execnz .LBB0_68
.LBB0_69:                               ;   in Loop: Header=BB0_39 Depth=1
	s_or_b64 exec, exec, s[24:25]
	global_load_dwordx2 v[10:11], v9, s[20:21] offset:16
	s_mov_b64 s[26:27], exec
	v_mbcnt_lo_u32_b32 v8, s26, 0
	v_mbcnt_hi_u32_b32 v8, s27, v8
	v_cmp_eq_u32_e32 vcc, 0, v8
	s_and_saveexec_b64 s[24:25], vcc
	s_cbranch_execz .LBB0_71
; %bb.70:                               ;   in Loop: Header=BB0_39 Depth=1
	s_bcnt1_i32_b64 s13, s[26:27]
	v_mov_b32_e32 v8, s13
	s_waitcnt vmcnt(0)
	global_atomic_add_x2 v[10:11], v[8:9], off offset:8
.LBB0_71:                               ;   in Loop: Header=BB0_39 Depth=1
	s_or_b64 exec, exec, s[24:25]
	s_waitcnt vmcnt(0)
	global_load_dwordx2 v[14:15], v[10:11], off offset:16
	s_waitcnt vmcnt(0)
	v_cmp_eq_u64_e32 vcc, 0, v[14:15]
	s_cbranch_vccnz .LBB0_73
; %bb.72:                               ;   in Loop: Header=BB0_39 Depth=1
	global_load_dword v8, v[10:11], off offset:24
	s_waitcnt vmcnt(0)
	v_readfirstlane_b32 s13, v8
	s_and_b32 m0, s13, 0xffffff
	global_store_dwordx2 v[14:15], v[8:9], off
	s_sendmsg sendmsg(MSG_INTERRUPT)
.LBB0_73:                               ;   in Loop: Header=BB0_39 Depth=1
	s_or_b64 exec, exec, s[14:15]
	v_add_co_u32_e32 v10, vcc, v20, v50
	v_addc_co_u32_e32 v11, vcc, 0, v21, vcc
	s_branch .LBB0_77
.LBB0_74:                               ;   in Loop: Header=BB0_77 Depth=2
	s_or_b64 exec, exec, s[14:15]
	v_readfirstlane_b32 s13, v8
	s_cmp_eq_u32 s13, 0
	s_cbranch_scc1 .LBB0_76
; %bb.75:                               ;   in Loop: Header=BB0_77 Depth=2
	s_sleep 1
	s_cbranch_execnz .LBB0_77
	s_branch .LBB0_79
.LBB0_76:                               ;   in Loop: Header=BB0_39 Depth=1
	s_branch .LBB0_79
.LBB0_77:                               ;   Parent Loop BB0_39 Depth=1
                                        ; =>  This Inner Loop Header: Depth=2
	v_mov_b32_e32 v8, 1
	s_and_saveexec_b64 s[14:15], s[6:7]
	s_cbranch_execz .LBB0_74
; %bb.78:                               ;   in Loop: Header=BB0_77 Depth=2
	global_load_dword v8, v[18:19], off offset:20 glc
	s_waitcnt vmcnt(0)
	buffer_wbinvl1_vol
	v_and_b32_e32 v8, 1, v8
	s_branch .LBB0_74
.LBB0_79:                               ;   in Loop: Header=BB0_39 Depth=1
	global_load_dwordx2 v[14:15], v[10:11], off
	s_and_saveexec_b64 s[14:15], s[6:7]
	s_cbranch_execz .LBB0_83
; %bb.80:                               ;   in Loop: Header=BB0_39 Depth=1
	global_load_dwordx2 v[10:11], v9, s[20:21] offset:40
	global_load_dwordx2 v[20:21], v9, s[20:21] offset:24 glc
	global_load_dwordx2 v[16:17], v9, s[20:21]
	s_waitcnt vmcnt(2)
	v_readfirstlane_b32 s24, v10
	v_readfirstlane_b32 s25, v11
	s_add_u32 s13, s24, 1
	s_addc_u32 s26, s25, 0
	s_add_u32 s6, s13, s22
	s_addc_u32 s7, s26, s23
	s_cmp_eq_u64 s[6:7], 0
	s_cselect_b32 s7, s26, s7
	s_cselect_b32 s6, s13, s6
	s_and_b64 s[22:23], s[6:7], s[24:25]
	s_mul_i32 s13, s23, 24
	s_mul_hi_u32 s23, s22, 24
	s_mul_i32 s22, s22, 24
	s_add_i32 s13, s23, s13
	v_mov_b32_e32 v8, s13
	s_waitcnt vmcnt(0)
	v_add_co_u32_e32 v10, vcc, s22, v16
	v_addc_co_u32_e32 v11, vcc, v17, v8, vcc
	v_mov_b32_e32 v18, s6
	global_store_dwordx2 v[10:11], v[20:21], off
	v_mov_b32_e32 v19, s7
	s_waitcnt vmcnt(0)
	global_atomic_cmpswap_x2 v[18:19], v9, v[18:21], s[20:21] offset:24 glc
	s_waitcnt vmcnt(0)
	v_cmp_ne_u64_e32 vcc, v[18:19], v[20:21]
	s_and_b64 exec, exec, vcc
	s_cbranch_execz .LBB0_83
; %bb.81:                               ;   in Loop: Header=BB0_39 Depth=1
	s_mov_b64 s[22:23], 0
.LBB0_82:                               ;   Parent Loop BB0_39 Depth=1
                                        ; =>  This Inner Loop Header: Depth=2
	s_sleep 1
	global_store_dwordx2 v[10:11], v[18:19], off
	v_mov_b32_e32 v16, s6
	v_mov_b32_e32 v17, s7
	s_waitcnt vmcnt(0)
	global_atomic_cmpswap_x2 v[16:17], v9, v[16:19], s[20:21] offset:24 glc
	s_waitcnt vmcnt(0)
	v_cmp_eq_u64_e32 vcc, v[16:17], v[18:19]
	v_mov_b32_e32 v19, v17
	s_or_b64 s[22:23], vcc, s[22:23]
	v_mov_b32_e32 v18, v16
	s_andn2_b64 exec, exec, s[22:23]
	s_cbranch_execnz .LBB0_82
.LBB0_83:                               ;   in Loop: Header=BB0_39 Depth=1
	s_or_b64 exec, exec, s[14:15]
	s_and_b64 vcc, exec, s[10:11]
	s_cbranch_vccz .LBB0_169
; %bb.84:                               ;   in Loop: Header=BB0_39 Depth=1
	s_waitcnt vmcnt(0)
	v_and_b32_e32 v16, -3, v14
	v_mov_b32_e32 v17, v15
	s_mov_b64 s[22:23], 39
	s_getpc_b64 s[14:15]
	s_add_u32 s14, s14, .str.2@rel32@lo+4
	s_addc_u32 s15, s15, .str.2@rel32@hi+12
	s_branch .LBB0_86
.LBB0_85:                               ;   in Loop: Header=BB0_86 Depth=2
	s_or_b64 exec, exec, s[28:29]
	s_sub_u32 s22, s22, s24
	s_subb_u32 s23, s23, s25
	s_add_u32 s14, s14, s24
	s_addc_u32 s15, s15, s25
	s_cmp_lg_u64 s[22:23], 0
	s_cbranch_scc0 .LBB0_168
.LBB0_86:                               ;   Parent Loop BB0_39 Depth=1
                                        ; =>  This Loop Header: Depth=2
                                        ;       Child Loop BB0_89 Depth 3
                                        ;       Child Loop BB0_97 Depth 3
	;; [unrolled: 1-line block ×11, first 2 shown]
	v_cmp_lt_u64_e64 s[6:7], s[22:23], 56
	v_cmp_gt_u64_e64 s[26:27], s[22:23], 7
	s_and_b64 s[6:7], s[6:7], exec
	s_cselect_b32 s25, s23, 0
	s_cselect_b32 s24, s22, 56
	s_add_u32 s6, s14, 8
	s_addc_u32 s7, s15, 0
	s_and_b64 vcc, exec, s[26:27]
	s_cbranch_vccnz .LBB0_90
; %bb.87:                               ;   in Loop: Header=BB0_86 Depth=2
	s_cmp_eq_u64 s[22:23], 0
	s_cbranch_scc1 .LBB0_91
; %bb.88:                               ;   in Loop: Header=BB0_86 Depth=2
	s_waitcnt vmcnt(0)
	v_mov_b32_e32 v18, 0
	s_lshl_b64 s[6:7], s[24:25], 3
	s_mov_b64 s[26:27], 0
	v_mov_b32_e32 v19, 0
	s_mov_b64 s[28:29], s[14:15]
.LBB0_89:                               ;   Parent Loop BB0_39 Depth=1
                                        ;     Parent Loop BB0_86 Depth=2
                                        ; =>    This Inner Loop Header: Depth=3
	global_load_ubyte v8, v9, s[28:29]
	s_waitcnt vmcnt(0)
	v_and_b32_e32 v8, 0xffff, v8
	v_lshlrev_b64 v[10:11], s26, v[8:9]
	s_add_u32 s26, s26, 8
	s_addc_u32 s27, s27, 0
	s_add_u32 s28, s28, 1
	s_addc_u32 s29, s29, 0
	v_or_b32_e32 v18, v10, v18
	s_cmp_lg_u32 s6, s26
	v_or_b32_e32 v19, v11, v19
	s_cbranch_scc1 .LBB0_89
	s_branch .LBB0_92
.LBB0_90:                               ;   in Loop: Header=BB0_86 Depth=2
	s_mov_b32 s13, 0
	s_branch .LBB0_93
.LBB0_91:                               ;   in Loop: Header=BB0_86 Depth=2
	s_waitcnt vmcnt(0)
	v_mov_b32_e32 v18, 0
	v_mov_b32_e32 v19, 0
.LBB0_92:                               ;   in Loop: Header=BB0_86 Depth=2
	s_mov_b64 s[6:7], s[14:15]
	s_mov_b32 s13, 0
	s_cbranch_execnz .LBB0_94
.LBB0_93:                               ;   in Loop: Header=BB0_86 Depth=2
	global_load_dwordx2 v[18:19], v9, s[14:15]
	s_add_i32 s13, s24, -8
.LBB0_94:                               ;   in Loop: Header=BB0_86 Depth=2
	s_add_u32 s26, s6, 8
	s_addc_u32 s27, s7, 0
	s_cmp_gt_u32 s13, 7
	s_cbranch_scc1 .LBB0_98
; %bb.95:                               ;   in Loop: Header=BB0_86 Depth=2
	s_cmp_eq_u32 s13, 0
	s_cbranch_scc1 .LBB0_99
; %bb.96:                               ;   in Loop: Header=BB0_86 Depth=2
	v_mov_b32_e32 v20, 0
	s_mov_b64 s[26:27], 0
	v_mov_b32_e32 v21, 0
	s_mov_b64 s[28:29], 0
.LBB0_97:                               ;   Parent Loop BB0_39 Depth=1
                                        ;     Parent Loop BB0_86 Depth=2
                                        ; =>    This Inner Loop Header: Depth=3
	s_add_u32 s40, s6, s28
	s_addc_u32 s41, s7, s29
	global_load_ubyte v8, v9, s[40:41]
	s_add_u32 s28, s28, 1
	s_addc_u32 s29, s29, 0
	s_waitcnt vmcnt(0)
	v_and_b32_e32 v8, 0xffff, v8
	v_lshlrev_b64 v[10:11], s26, v[8:9]
	s_add_u32 s26, s26, 8
	s_addc_u32 s27, s27, 0
	v_or_b32_e32 v20, v10, v20
	s_cmp_lg_u32 s13, s28
	v_or_b32_e32 v21, v11, v21
	s_cbranch_scc1 .LBB0_97
	s_branch .LBB0_100
.LBB0_98:                               ;   in Loop: Header=BB0_86 Depth=2
                                        ; implicit-def: $vgpr20_vgpr21
	s_mov_b32 s40, 0
	s_branch .LBB0_101
.LBB0_99:                               ;   in Loop: Header=BB0_86 Depth=2
	v_mov_b32_e32 v20, 0
	v_mov_b32_e32 v21, 0
.LBB0_100:                              ;   in Loop: Header=BB0_86 Depth=2
	s_mov_b64 s[26:27], s[6:7]
	s_mov_b32 s40, 0
	s_cbranch_execnz .LBB0_102
.LBB0_101:                              ;   in Loop: Header=BB0_86 Depth=2
	global_load_dwordx2 v[20:21], v9, s[6:7]
	s_add_i32 s40, s13, -8
.LBB0_102:                              ;   in Loop: Header=BB0_86 Depth=2
	s_add_u32 s6, s26, 8
	s_addc_u32 s7, s27, 0
	s_cmp_gt_u32 s40, 7
	s_cbranch_scc1 .LBB0_106
; %bb.103:                              ;   in Loop: Header=BB0_86 Depth=2
	s_cmp_eq_u32 s40, 0
	s_cbranch_scc1 .LBB0_107
; %bb.104:                              ;   in Loop: Header=BB0_86 Depth=2
	v_mov_b32_e32 v22, 0
	s_mov_b64 s[6:7], 0
	v_mov_b32_e32 v23, 0
	s_mov_b64 s[28:29], 0
.LBB0_105:                              ;   Parent Loop BB0_39 Depth=1
                                        ;     Parent Loop BB0_86 Depth=2
                                        ; =>    This Inner Loop Header: Depth=3
	s_add_u32 s42, s26, s28
	s_addc_u32 s43, s27, s29
	global_load_ubyte v8, v9, s[42:43]
	s_add_u32 s28, s28, 1
	s_addc_u32 s29, s29, 0
	s_waitcnt vmcnt(0)
	v_and_b32_e32 v8, 0xffff, v8
	v_lshlrev_b64 v[10:11], s6, v[8:9]
	s_add_u32 s6, s6, 8
	s_addc_u32 s7, s7, 0
	v_or_b32_e32 v22, v10, v22
	s_cmp_lg_u32 s40, s28
	v_or_b32_e32 v23, v11, v23
	s_cbranch_scc1 .LBB0_105
	s_branch .LBB0_108
.LBB0_106:                              ;   in Loop: Header=BB0_86 Depth=2
	s_mov_b32 s13, 0
	s_branch .LBB0_109
.LBB0_107:                              ;   in Loop: Header=BB0_86 Depth=2
	v_mov_b32_e32 v22, 0
	v_mov_b32_e32 v23, 0
.LBB0_108:                              ;   in Loop: Header=BB0_86 Depth=2
	s_mov_b64 s[6:7], s[26:27]
	s_mov_b32 s13, 0
	s_cbranch_execnz .LBB0_110
.LBB0_109:                              ;   in Loop: Header=BB0_86 Depth=2
	global_load_dwordx2 v[22:23], v9, s[26:27]
	s_add_i32 s13, s40, -8
.LBB0_110:                              ;   in Loop: Header=BB0_86 Depth=2
	s_add_u32 s26, s6, 8
	s_addc_u32 s27, s7, 0
	s_cmp_gt_u32 s13, 7
	s_cbranch_scc1 .LBB0_114
; %bb.111:                              ;   in Loop: Header=BB0_86 Depth=2
	s_cmp_eq_u32 s13, 0
	s_cbranch_scc1 .LBB0_115
; %bb.112:                              ;   in Loop: Header=BB0_86 Depth=2
	v_mov_b32_e32 v24, 0
	s_mov_b64 s[26:27], 0
	v_mov_b32_e32 v25, 0
	s_mov_b64 s[28:29], 0
.LBB0_113:                              ;   Parent Loop BB0_39 Depth=1
                                        ;     Parent Loop BB0_86 Depth=2
                                        ; =>    This Inner Loop Header: Depth=3
	s_add_u32 s40, s6, s28
	s_addc_u32 s41, s7, s29
	global_load_ubyte v8, v9, s[40:41]
	s_add_u32 s28, s28, 1
	s_addc_u32 s29, s29, 0
	s_waitcnt vmcnt(0)
	v_and_b32_e32 v8, 0xffff, v8
	v_lshlrev_b64 v[10:11], s26, v[8:9]
	s_add_u32 s26, s26, 8
	s_addc_u32 s27, s27, 0
	v_or_b32_e32 v24, v10, v24
	s_cmp_lg_u32 s13, s28
	v_or_b32_e32 v25, v11, v25
	s_cbranch_scc1 .LBB0_113
	s_branch .LBB0_116
.LBB0_114:                              ;   in Loop: Header=BB0_86 Depth=2
                                        ; implicit-def: $vgpr24_vgpr25
	s_mov_b32 s40, 0
	s_branch .LBB0_117
.LBB0_115:                              ;   in Loop: Header=BB0_86 Depth=2
	v_mov_b32_e32 v24, 0
	v_mov_b32_e32 v25, 0
.LBB0_116:                              ;   in Loop: Header=BB0_86 Depth=2
	s_mov_b64 s[26:27], s[6:7]
	s_mov_b32 s40, 0
	s_cbranch_execnz .LBB0_118
.LBB0_117:                              ;   in Loop: Header=BB0_86 Depth=2
	global_load_dwordx2 v[24:25], v9, s[6:7]
	s_add_i32 s40, s13, -8
.LBB0_118:                              ;   in Loop: Header=BB0_86 Depth=2
	s_add_u32 s6, s26, 8
	s_addc_u32 s7, s27, 0
	s_cmp_gt_u32 s40, 7
	s_cbranch_scc1 .LBB0_122
; %bb.119:                              ;   in Loop: Header=BB0_86 Depth=2
	s_cmp_eq_u32 s40, 0
	s_cbranch_scc1 .LBB0_123
; %bb.120:                              ;   in Loop: Header=BB0_86 Depth=2
	v_mov_b32_e32 v26, 0
	s_mov_b64 s[6:7], 0
	v_mov_b32_e32 v27, 0
	s_mov_b64 s[28:29], 0
.LBB0_121:                              ;   Parent Loop BB0_39 Depth=1
                                        ;     Parent Loop BB0_86 Depth=2
                                        ; =>    This Inner Loop Header: Depth=3
	s_add_u32 s42, s26, s28
	s_addc_u32 s43, s27, s29
	global_load_ubyte v8, v9, s[42:43]
	s_add_u32 s28, s28, 1
	s_addc_u32 s29, s29, 0
	s_waitcnt vmcnt(0)
	v_and_b32_e32 v8, 0xffff, v8
	v_lshlrev_b64 v[10:11], s6, v[8:9]
	s_add_u32 s6, s6, 8
	s_addc_u32 s7, s7, 0
	v_or_b32_e32 v26, v10, v26
	s_cmp_lg_u32 s40, s28
	v_or_b32_e32 v27, v11, v27
	s_cbranch_scc1 .LBB0_121
	s_branch .LBB0_124
.LBB0_122:                              ;   in Loop: Header=BB0_86 Depth=2
	s_mov_b32 s13, 0
	s_branch .LBB0_125
.LBB0_123:                              ;   in Loop: Header=BB0_86 Depth=2
	v_mov_b32_e32 v26, 0
	v_mov_b32_e32 v27, 0
.LBB0_124:                              ;   in Loop: Header=BB0_86 Depth=2
	s_mov_b64 s[6:7], s[26:27]
	s_mov_b32 s13, 0
	s_cbranch_execnz .LBB0_126
.LBB0_125:                              ;   in Loop: Header=BB0_86 Depth=2
	global_load_dwordx2 v[26:27], v9, s[26:27]
	s_add_i32 s13, s40, -8
.LBB0_126:                              ;   in Loop: Header=BB0_86 Depth=2
	s_add_u32 s26, s6, 8
	s_addc_u32 s27, s7, 0
	s_cmp_gt_u32 s13, 7
	s_cbranch_scc1 .LBB0_130
; %bb.127:                              ;   in Loop: Header=BB0_86 Depth=2
	s_cmp_eq_u32 s13, 0
	s_cbranch_scc1 .LBB0_131
; %bb.128:                              ;   in Loop: Header=BB0_86 Depth=2
	v_mov_b32_e32 v28, 0
	s_mov_b64 s[26:27], 0
	v_mov_b32_e32 v29, 0
	s_mov_b64 s[28:29], 0
.LBB0_129:                              ;   Parent Loop BB0_39 Depth=1
                                        ;     Parent Loop BB0_86 Depth=2
                                        ; =>    This Inner Loop Header: Depth=3
	s_add_u32 s40, s6, s28
	s_addc_u32 s41, s7, s29
	global_load_ubyte v8, v9, s[40:41]
	s_add_u32 s28, s28, 1
	s_addc_u32 s29, s29, 0
	s_waitcnt vmcnt(0)
	v_and_b32_e32 v8, 0xffff, v8
	v_lshlrev_b64 v[10:11], s26, v[8:9]
	s_add_u32 s26, s26, 8
	s_addc_u32 s27, s27, 0
	v_or_b32_e32 v28, v10, v28
	s_cmp_lg_u32 s13, s28
	v_or_b32_e32 v29, v11, v29
	s_cbranch_scc1 .LBB0_129
	s_branch .LBB0_132
.LBB0_130:                              ;   in Loop: Header=BB0_86 Depth=2
                                        ; implicit-def: $vgpr28_vgpr29
	s_mov_b32 s40, 0
	s_branch .LBB0_133
.LBB0_131:                              ;   in Loop: Header=BB0_86 Depth=2
	v_mov_b32_e32 v28, 0
	v_mov_b32_e32 v29, 0
.LBB0_132:                              ;   in Loop: Header=BB0_86 Depth=2
	s_mov_b64 s[26:27], s[6:7]
	s_mov_b32 s40, 0
	s_cbranch_execnz .LBB0_134
.LBB0_133:                              ;   in Loop: Header=BB0_86 Depth=2
	global_load_dwordx2 v[28:29], v9, s[6:7]
	s_add_i32 s40, s13, -8
.LBB0_134:                              ;   in Loop: Header=BB0_86 Depth=2
	s_cmp_gt_u32 s40, 7
	s_cbranch_scc1 .LBB0_138
; %bb.135:                              ;   in Loop: Header=BB0_86 Depth=2
	s_cmp_eq_u32 s40, 0
	s_cbranch_scc1 .LBB0_139
; %bb.136:                              ;   in Loop: Header=BB0_86 Depth=2
	v_mov_b32_e32 v30, 0
	s_mov_b64 s[6:7], 0
	v_mov_b32_e32 v31, 0
	s_mov_b64 s[28:29], s[26:27]
.LBB0_137:                              ;   Parent Loop BB0_39 Depth=1
                                        ;     Parent Loop BB0_86 Depth=2
                                        ; =>    This Inner Loop Header: Depth=3
	global_load_ubyte v8, v9, s[28:29]
	s_add_i32 s40, s40, -1
	s_waitcnt vmcnt(0)
	v_and_b32_e32 v8, 0xffff, v8
	v_lshlrev_b64 v[10:11], s6, v[8:9]
	s_add_u32 s6, s6, 8
	s_addc_u32 s7, s7, 0
	s_add_u32 s28, s28, 1
	s_addc_u32 s29, s29, 0
	v_or_b32_e32 v30, v10, v30
	s_cmp_lg_u32 s40, 0
	v_or_b32_e32 v31, v11, v31
	s_cbranch_scc1 .LBB0_137
	s_branch .LBB0_140
.LBB0_138:                              ;   in Loop: Header=BB0_86 Depth=2
	s_branch .LBB0_141
.LBB0_139:                              ;   in Loop: Header=BB0_86 Depth=2
	v_mov_b32_e32 v30, 0
	v_mov_b32_e32 v31, 0
.LBB0_140:                              ;   in Loop: Header=BB0_86 Depth=2
	s_cbranch_execnz .LBB0_142
.LBB0_141:                              ;   in Loop: Header=BB0_86 Depth=2
	global_load_dwordx2 v[30:31], v9, s[26:27]
.LBB0_142:                              ;   in Loop: Header=BB0_86 Depth=2
	v_readfirstlane_b32 s6, v38
	v_mov_b32_e32 v10, 0
	v_mov_b32_e32 v11, 0
	v_cmp_eq_u32_e64 s[6:7], s6, v38
	s_and_saveexec_b64 s[26:27], s[6:7]
	s_cbranch_execz .LBB0_148
; %bb.143:                              ;   in Loop: Header=BB0_86 Depth=2
	global_load_dwordx2 v[34:35], v9, s[20:21] offset:24 glc
	s_waitcnt vmcnt(0)
	buffer_wbinvl1_vol
	global_load_dwordx2 v[10:11], v9, s[20:21] offset:40
	global_load_dwordx2 v[32:33], v9, s[20:21]
	s_waitcnt vmcnt(1)
	v_and_b32_e32 v8, v10, v34
	v_and_b32_e32 v10, v11, v35
	v_mul_lo_u32 v10, v10, 24
	v_mul_hi_u32 v11, v8, 24
	v_mul_lo_u32 v8, v8, 24
	v_add_u32_e32 v11, v11, v10
	s_waitcnt vmcnt(0)
	v_add_co_u32_e32 v10, vcc, v32, v8
	v_addc_co_u32_e32 v11, vcc, v33, v11, vcc
	global_load_dwordx2 v[32:33], v[10:11], off glc
	s_waitcnt vmcnt(0)
	global_atomic_cmpswap_x2 v[10:11], v9, v[32:35], s[20:21] offset:24 glc
	s_waitcnt vmcnt(0)
	buffer_wbinvl1_vol
	v_cmp_ne_u64_e32 vcc, v[10:11], v[34:35]
	s_and_saveexec_b64 s[28:29], vcc
	s_cbranch_execz .LBB0_147
; %bb.144:                              ;   in Loop: Header=BB0_86 Depth=2
	s_mov_b64 s[40:41], 0
.LBB0_145:                              ;   Parent Loop BB0_39 Depth=1
                                        ;     Parent Loop BB0_86 Depth=2
                                        ; =>    This Inner Loop Header: Depth=3
	s_sleep 1
	global_load_dwordx2 v[32:33], v9, s[20:21] offset:40
	global_load_dwordx2 v[36:37], v9, s[20:21]
	v_mov_b32_e32 v35, v11
	v_mov_b32_e32 v34, v10
	s_waitcnt vmcnt(1)
	v_and_b32_e32 v8, v32, v34
	s_waitcnt vmcnt(0)
	v_mad_u64_u32 v[10:11], s[42:43], v8, 24, v[36:37]
	v_and_b32_e32 v32, v33, v35
	v_mov_b32_e32 v8, v11
	v_mad_u64_u32 v[32:33], s[42:43], v32, 24, v[8:9]
	v_mov_b32_e32 v11, v32
	global_load_dwordx2 v[32:33], v[10:11], off glc
	s_waitcnt vmcnt(0)
	global_atomic_cmpswap_x2 v[10:11], v9, v[32:35], s[20:21] offset:24 glc
	s_waitcnt vmcnt(0)
	buffer_wbinvl1_vol
	v_cmp_eq_u64_e32 vcc, v[10:11], v[34:35]
	s_or_b64 s[40:41], vcc, s[40:41]
	s_andn2_b64 exec, exec, s[40:41]
	s_cbranch_execnz .LBB0_145
; %bb.146:                              ;   in Loop: Header=BB0_86 Depth=2
	s_or_b64 exec, exec, s[40:41]
.LBB0_147:                              ;   in Loop: Header=BB0_86 Depth=2
	s_or_b64 exec, exec, s[28:29]
.LBB0_148:                              ;   in Loop: Header=BB0_86 Depth=2
	s_or_b64 exec, exec, s[26:27]
	global_load_dwordx2 v[36:37], v9, s[20:21] offset:40
	global_load_dwordx4 v[32:35], v9, s[20:21]
	v_readfirstlane_b32 s27, v11
	v_readfirstlane_b32 s26, v10
	s_mov_b64 s[28:29], exec
	s_waitcnt vmcnt(1)
	v_readfirstlane_b32 s40, v36
	v_readfirstlane_b32 s41, v37
	s_and_b64 s[40:41], s[40:41], s[26:27]
	s_mul_i32 s13, s41, 24
	s_mul_hi_u32 s42, s40, 24
	s_mul_i32 s43, s40, 24
	s_add_i32 s13, s42, s13
	v_mov_b32_e32 v8, s13
	s_waitcnt vmcnt(0)
	v_add_co_u32_e32 v36, vcc, s43, v32
	v_addc_co_u32_e32 v37, vcc, v33, v8, vcc
	s_and_saveexec_b64 s[42:43], s[6:7]
	s_cbranch_execz .LBB0_150
; %bb.149:                              ;   in Loop: Header=BB0_86 Depth=2
	v_mov_b32_e32 v10, s28
	v_mov_b32_e32 v11, s29
	global_store_dwordx4 v[36:37], v[10:13], off offset:8
.LBB0_150:                              ;   in Loop: Header=BB0_86 Depth=2
	s_or_b64 exec, exec, s[42:43]
	s_lshl_b64 s[28:29], s[40:41], 12
	v_cmp_gt_u64_e64 s[40:41], s[22:23], 56
	v_mov_b32_e32 v8, s29
	v_add_co_u32_e32 v34, vcc, s28, v34
	s_and_b64 s[28:29], s[40:41], exec
	s_cselect_b32 s13, 0, 2
	s_lshl_b32 s28, s24, 2
	v_addc_co_u32_e32 v35, vcc, v35, v8, vcc
	s_add_i32 s28, s28, 28
	v_and_b32_e32 v8, 0xffffff1f, v16
	s_and_b32 s28, s28, 0x1e0
	v_or_b32_e32 v8, s13, v8
	v_or_b32_e32 v16, s28, v8
	v_readfirstlane_b32 s28, v34
	v_readfirstlane_b32 s29, v35
	s_nop 4
	global_store_dwordx4 v50, v[16:19], s[28:29]
	global_store_dwordx4 v50, v[20:23], s[28:29] offset:16
	global_store_dwordx4 v50, v[24:27], s[28:29] offset:32
	;; [unrolled: 1-line block ×3, first 2 shown]
	s_and_saveexec_b64 s[28:29], s[6:7]
	s_cbranch_execz .LBB0_158
; %bb.151:                              ;   in Loop: Header=BB0_86 Depth=2
	global_load_dwordx2 v[20:21], v9, s[20:21] offset:32 glc
	global_load_dwordx2 v[10:11], v9, s[20:21] offset:40
	v_mov_b32_e32 v18, s26
	v_mov_b32_e32 v19, s27
	s_waitcnt vmcnt(0)
	v_readfirstlane_b32 s40, v10
	v_readfirstlane_b32 s41, v11
	s_and_b64 s[40:41], s[40:41], s[26:27]
	s_mul_i32 s13, s41, 24
	s_mul_hi_u32 s41, s40, 24
	s_mul_i32 s40, s40, 24
	s_add_i32 s13, s41, s13
	v_mov_b32_e32 v8, s13
	v_add_co_u32_e32 v10, vcc, s40, v32
	v_addc_co_u32_e32 v11, vcc, v33, v8, vcc
	global_store_dwordx2 v[10:11], v[20:21], off
	s_waitcnt vmcnt(0)
	global_atomic_cmpswap_x2 v[18:19], v9, v[18:21], s[20:21] offset:32 glc
	s_waitcnt vmcnt(0)
	v_cmp_ne_u64_e32 vcc, v[18:19], v[20:21]
	s_and_saveexec_b64 s[40:41], vcc
	s_cbranch_execz .LBB0_154
; %bb.152:                              ;   in Loop: Header=BB0_86 Depth=2
	s_mov_b64 s[42:43], 0
.LBB0_153:                              ;   Parent Loop BB0_39 Depth=1
                                        ;     Parent Loop BB0_86 Depth=2
                                        ; =>    This Inner Loop Header: Depth=3
	s_sleep 1
	global_store_dwordx2 v[10:11], v[18:19], off
	v_mov_b32_e32 v16, s26
	v_mov_b32_e32 v17, s27
	s_waitcnt vmcnt(0)
	global_atomic_cmpswap_x2 v[16:17], v9, v[16:19], s[20:21] offset:32 glc
	s_waitcnt vmcnt(0)
	v_cmp_eq_u64_e32 vcc, v[16:17], v[18:19]
	v_mov_b32_e32 v19, v17
	s_or_b64 s[42:43], vcc, s[42:43]
	v_mov_b32_e32 v18, v16
	s_andn2_b64 exec, exec, s[42:43]
	s_cbranch_execnz .LBB0_153
.LBB0_154:                              ;   in Loop: Header=BB0_86 Depth=2
	s_or_b64 exec, exec, s[40:41]
	global_load_dwordx2 v[10:11], v9, s[20:21] offset:16
	s_mov_b64 s[42:43], exec
	v_mbcnt_lo_u32_b32 v8, s42, 0
	v_mbcnt_hi_u32_b32 v8, s43, v8
	v_cmp_eq_u32_e32 vcc, 0, v8
	s_and_saveexec_b64 s[40:41], vcc
	s_cbranch_execz .LBB0_156
; %bb.155:                              ;   in Loop: Header=BB0_86 Depth=2
	s_bcnt1_i32_b64 s13, s[42:43]
	v_mov_b32_e32 v8, s13
	s_waitcnt vmcnt(0)
	global_atomic_add_x2 v[10:11], v[8:9], off offset:8
.LBB0_156:                              ;   in Loop: Header=BB0_86 Depth=2
	s_or_b64 exec, exec, s[40:41]
	s_waitcnt vmcnt(0)
	global_load_dwordx2 v[16:17], v[10:11], off offset:16
	s_waitcnt vmcnt(0)
	v_cmp_eq_u64_e32 vcc, 0, v[16:17]
	s_cbranch_vccnz .LBB0_158
; %bb.157:                              ;   in Loop: Header=BB0_86 Depth=2
	global_load_dword v8, v[10:11], off offset:24
	s_waitcnt vmcnt(0)
	v_readfirstlane_b32 s13, v8
	s_and_b32 m0, s13, 0xffffff
	global_store_dwordx2 v[16:17], v[8:9], off
	s_sendmsg sendmsg(MSG_INTERRUPT)
.LBB0_158:                              ;   in Loop: Header=BB0_86 Depth=2
	s_or_b64 exec, exec, s[28:29]
	v_add_co_u32_e32 v10, vcc, v34, v50
	v_addc_co_u32_e32 v11, vcc, 0, v35, vcc
	s_branch .LBB0_162
.LBB0_159:                              ;   in Loop: Header=BB0_162 Depth=3
	s_or_b64 exec, exec, s[28:29]
	v_readfirstlane_b32 s13, v8
	s_cmp_eq_u32 s13, 0
	s_cbranch_scc1 .LBB0_161
; %bb.160:                              ;   in Loop: Header=BB0_162 Depth=3
	s_sleep 1
	s_cbranch_execnz .LBB0_162
	s_branch .LBB0_164
.LBB0_161:                              ;   in Loop: Header=BB0_86 Depth=2
	s_branch .LBB0_164
.LBB0_162:                              ;   Parent Loop BB0_39 Depth=1
                                        ;     Parent Loop BB0_86 Depth=2
                                        ; =>    This Inner Loop Header: Depth=3
	v_mov_b32_e32 v8, 1
	s_and_saveexec_b64 s[28:29], s[6:7]
	s_cbranch_execz .LBB0_159
; %bb.163:                              ;   in Loop: Header=BB0_162 Depth=3
	global_load_dword v8, v[36:37], off offset:20 glc
	s_waitcnt vmcnt(0)
	buffer_wbinvl1_vol
	v_and_b32_e32 v8, 1, v8
	s_branch .LBB0_159
.LBB0_164:                              ;   in Loop: Header=BB0_86 Depth=2
	global_load_dwordx4 v[16:19], v[10:11], off
	s_and_saveexec_b64 s[28:29], s[6:7]
	s_cbranch_execz .LBB0_85
; %bb.165:                              ;   in Loop: Header=BB0_86 Depth=2
	global_load_dwordx2 v[10:11], v9, s[20:21] offset:40
	global_load_dwordx2 v[22:23], v9, s[20:21] offset:24 glc
	global_load_dwordx2 v[18:19], v9, s[20:21]
	s_waitcnt vmcnt(2)
	v_readfirstlane_b32 s40, v10
	v_readfirstlane_b32 s41, v11
	s_add_u32 s13, s40, 1
	s_addc_u32 s42, s41, 0
	s_add_u32 s6, s13, s26
	s_addc_u32 s7, s42, s27
	s_cmp_eq_u64 s[6:7], 0
	s_cselect_b32 s7, s42, s7
	s_cselect_b32 s6, s13, s6
	s_and_b64 s[26:27], s[6:7], s[40:41]
	s_mul_i32 s13, s27, 24
	s_mul_hi_u32 s27, s26, 24
	s_mul_i32 s26, s26, 24
	s_add_i32 s13, s27, s13
	v_mov_b32_e32 v8, s13
	s_waitcnt vmcnt(0)
	v_add_co_u32_e32 v10, vcc, s26, v18
	v_addc_co_u32_e32 v11, vcc, v19, v8, vcc
	v_mov_b32_e32 v20, s6
	global_store_dwordx2 v[10:11], v[22:23], off
	v_mov_b32_e32 v21, s7
	s_waitcnt vmcnt(0)
	global_atomic_cmpswap_x2 v[20:21], v9, v[20:23], s[20:21] offset:24 glc
	s_waitcnt vmcnt(0)
	v_cmp_ne_u64_e32 vcc, v[20:21], v[22:23]
	s_and_b64 exec, exec, vcc
	s_cbranch_execz .LBB0_85
; %bb.166:                              ;   in Loop: Header=BB0_86 Depth=2
	s_mov_b64 s[26:27], 0
.LBB0_167:                              ;   Parent Loop BB0_39 Depth=1
                                        ;     Parent Loop BB0_86 Depth=2
                                        ; =>    This Inner Loop Header: Depth=3
	s_sleep 1
	global_store_dwordx2 v[10:11], v[20:21], off
	v_mov_b32_e32 v18, s6
	v_mov_b32_e32 v19, s7
	s_waitcnt vmcnt(0)
	global_atomic_cmpswap_x2 v[18:19], v9, v[18:21], s[20:21] offset:24 glc
	s_waitcnt vmcnt(0)
	v_cmp_eq_u64_e32 vcc, v[18:19], v[20:21]
	v_mov_b32_e32 v21, v19
	s_or_b64 s[26:27], vcc, s[26:27]
	v_mov_b32_e32 v20, v18
	s_andn2_b64 exec, exec, s[26:27]
	s_cbranch_execnz .LBB0_167
	s_branch .LBB0_85
.LBB0_168:                              ;   in Loop: Header=BB0_39 Depth=1
	s_branch .LBB0_197
.LBB0_169:                              ;   in Loop: Header=BB0_39 Depth=1
	s_cbranch_execz .LBB0_197
; %bb.170:                              ;   in Loop: Header=BB0_39 Depth=1
	v_readfirstlane_b32 s6, v38
	v_mov_b32_e32 v10, 0
	v_mov_b32_e32 v11, 0
	v_cmp_eq_u32_e64 s[6:7], s6, v38
	s_and_saveexec_b64 s[14:15], s[6:7]
	s_cbranch_execz .LBB0_176
; %bb.171:                              ;   in Loop: Header=BB0_39 Depth=1
	global_load_dwordx2 v[18:19], v9, s[20:21] offset:24 glc
	s_waitcnt vmcnt(0)
	buffer_wbinvl1_vol
	global_load_dwordx2 v[10:11], v9, s[20:21] offset:40
	global_load_dwordx2 v[16:17], v9, s[20:21]
	s_waitcnt vmcnt(1)
	v_and_b32_e32 v8, v10, v18
	v_and_b32_e32 v10, v11, v19
	v_mul_lo_u32 v10, v10, 24
	v_mul_hi_u32 v11, v8, 24
	v_mul_lo_u32 v8, v8, 24
	v_add_u32_e32 v11, v11, v10
	s_waitcnt vmcnt(0)
	v_add_co_u32_e32 v10, vcc, v16, v8
	v_addc_co_u32_e32 v11, vcc, v17, v11, vcc
	global_load_dwordx2 v[16:17], v[10:11], off glc
	s_waitcnt vmcnt(0)
	global_atomic_cmpswap_x2 v[10:11], v9, v[16:19], s[20:21] offset:24 glc
	s_waitcnt vmcnt(0)
	buffer_wbinvl1_vol
	v_cmp_ne_u64_e32 vcc, v[10:11], v[18:19]
	s_and_saveexec_b64 s[22:23], vcc
	s_cbranch_execz .LBB0_175
; %bb.172:                              ;   in Loop: Header=BB0_39 Depth=1
	s_mov_b64 s[24:25], 0
.LBB0_173:                              ;   Parent Loop BB0_39 Depth=1
                                        ; =>  This Inner Loop Header: Depth=2
	s_sleep 1
	global_load_dwordx2 v[16:17], v9, s[20:21] offset:40
	global_load_dwordx2 v[20:21], v9, s[20:21]
	v_mov_b32_e32 v19, v11
	v_mov_b32_e32 v18, v10
	s_waitcnt vmcnt(1)
	v_and_b32_e32 v8, v16, v18
	s_waitcnt vmcnt(0)
	v_mad_u64_u32 v[10:11], s[26:27], v8, 24, v[20:21]
	v_and_b32_e32 v16, v17, v19
	v_mov_b32_e32 v8, v11
	v_mad_u64_u32 v[16:17], s[26:27], v16, 24, v[8:9]
	v_mov_b32_e32 v11, v16
	global_load_dwordx2 v[16:17], v[10:11], off glc
	s_waitcnt vmcnt(0)
	global_atomic_cmpswap_x2 v[10:11], v9, v[16:19], s[20:21] offset:24 glc
	s_waitcnt vmcnt(0)
	buffer_wbinvl1_vol
	v_cmp_eq_u64_e32 vcc, v[10:11], v[18:19]
	s_or_b64 s[24:25], vcc, s[24:25]
	s_andn2_b64 exec, exec, s[24:25]
	s_cbranch_execnz .LBB0_173
; %bb.174:                              ;   in Loop: Header=BB0_39 Depth=1
	s_or_b64 exec, exec, s[24:25]
.LBB0_175:                              ;   in Loop: Header=BB0_39 Depth=1
	s_or_b64 exec, exec, s[22:23]
.LBB0_176:                              ;   in Loop: Header=BB0_39 Depth=1
	s_or_b64 exec, exec, s[14:15]
	global_load_dwordx2 v[16:17], v9, s[20:21] offset:40
	global_load_dwordx4 v[18:21], v9, s[20:21]
	v_readfirstlane_b32 s23, v11
	v_readfirstlane_b32 s22, v10
	s_mov_b64 s[14:15], exec
	s_waitcnt vmcnt(1)
	v_readfirstlane_b32 s24, v16
	v_readfirstlane_b32 s25, v17
	s_and_b64 s[24:25], s[24:25], s[22:23]
	s_mul_i32 s13, s25, 24
	s_mul_hi_u32 s26, s24, 24
	s_mul_i32 s27, s24, 24
	s_add_i32 s13, s26, s13
	v_mov_b32_e32 v8, s13
	s_waitcnt vmcnt(0)
	v_add_co_u32_e32 v22, vcc, s27, v18
	v_addc_co_u32_e32 v23, vcc, v19, v8, vcc
	s_and_saveexec_b64 s[26:27], s[6:7]
	s_cbranch_execz .LBB0_178
; %bb.177:                              ;   in Loop: Header=BB0_39 Depth=1
	v_mov_b32_e32 v10, s14
	v_mov_b32_e32 v11, s15
	global_store_dwordx4 v[22:23], v[10:13], off offset:8
.LBB0_178:                              ;   in Loop: Header=BB0_39 Depth=1
	s_or_b64 exec, exec, s[26:27]
	s_lshl_b64 s[14:15], s[24:25], 12
	v_mov_b32_e32 v8, s15
	v_add_co_u32_e32 v10, vcc, s14, v20
	v_addc_co_u32_e32 v8, vcc, v21, v8, vcc
	v_and_or_b32 v14, v14, s44, 34
	v_mov_b32_e32 v16, v9
	v_mov_b32_e32 v17, v9
	v_readfirstlane_b32 s24, v10
	v_readfirstlane_b32 s25, v8
	s_mov_b32 s15, s12
	s_mov_b32 s13, s12
	s_mov_b32 s14, s12
	s_nop 1
	global_store_dwordx4 v50, v[14:17], s[24:25]
	s_nop 0
	v_mov_b32_e32 v17, s15
	v_mov_b32_e32 v16, s14
	;; [unrolled: 1-line block ×4, first 2 shown]
	global_store_dwordx4 v50, v[14:17], s[24:25] offset:16
	global_store_dwordx4 v50, v[14:17], s[24:25] offset:32
	;; [unrolled: 1-line block ×3, first 2 shown]
	s_and_saveexec_b64 s[14:15], s[6:7]
	s_cbranch_execz .LBB0_186
; %bb.179:                              ;   in Loop: Header=BB0_39 Depth=1
	global_load_dwordx2 v[26:27], v9, s[20:21] offset:32 glc
	global_load_dwordx2 v[10:11], v9, s[20:21] offset:40
	v_mov_b32_e32 v24, s22
	v_mov_b32_e32 v25, s23
	s_waitcnt vmcnt(0)
	v_readfirstlane_b32 s24, v10
	v_readfirstlane_b32 s25, v11
	s_and_b64 s[24:25], s[24:25], s[22:23]
	s_mul_i32 s13, s25, 24
	s_mul_hi_u32 s25, s24, 24
	s_mul_i32 s24, s24, 24
	s_add_i32 s13, s25, s13
	v_mov_b32_e32 v8, s13
	v_add_co_u32_e32 v10, vcc, s24, v18
	v_addc_co_u32_e32 v11, vcc, v19, v8, vcc
	global_store_dwordx2 v[10:11], v[26:27], off
	s_waitcnt vmcnt(0)
	global_atomic_cmpswap_x2 v[16:17], v9, v[24:27], s[20:21] offset:32 glc
	s_waitcnt vmcnt(0)
	v_cmp_ne_u64_e32 vcc, v[16:17], v[26:27]
	s_and_saveexec_b64 s[24:25], vcc
	s_cbranch_execz .LBB0_182
; %bb.180:                              ;   in Loop: Header=BB0_39 Depth=1
	s_mov_b64 s[26:27], 0
.LBB0_181:                              ;   Parent Loop BB0_39 Depth=1
                                        ; =>  This Inner Loop Header: Depth=2
	s_sleep 1
	global_store_dwordx2 v[10:11], v[16:17], off
	v_mov_b32_e32 v14, s22
	v_mov_b32_e32 v15, s23
	s_waitcnt vmcnt(0)
	global_atomic_cmpswap_x2 v[14:15], v9, v[14:17], s[20:21] offset:32 glc
	s_waitcnt vmcnt(0)
	v_cmp_eq_u64_e32 vcc, v[14:15], v[16:17]
	v_mov_b32_e32 v17, v15
	s_or_b64 s[26:27], vcc, s[26:27]
	v_mov_b32_e32 v16, v14
	s_andn2_b64 exec, exec, s[26:27]
	s_cbranch_execnz .LBB0_181
.LBB0_182:                              ;   in Loop: Header=BB0_39 Depth=1
	s_or_b64 exec, exec, s[24:25]
	global_load_dwordx2 v[10:11], v9, s[20:21] offset:16
	s_mov_b64 s[26:27], exec
	v_mbcnt_lo_u32_b32 v8, s26, 0
	v_mbcnt_hi_u32_b32 v8, s27, v8
	v_cmp_eq_u32_e32 vcc, 0, v8
	s_and_saveexec_b64 s[24:25], vcc
	s_cbranch_execz .LBB0_184
; %bb.183:                              ;   in Loop: Header=BB0_39 Depth=1
	s_bcnt1_i32_b64 s13, s[26:27]
	v_mov_b32_e32 v8, s13
	s_waitcnt vmcnt(0)
	global_atomic_add_x2 v[10:11], v[8:9], off offset:8
.LBB0_184:                              ;   in Loop: Header=BB0_39 Depth=1
	s_or_b64 exec, exec, s[24:25]
	s_waitcnt vmcnt(0)
	global_load_dwordx2 v[14:15], v[10:11], off offset:16
	s_waitcnt vmcnt(0)
	v_cmp_eq_u64_e32 vcc, 0, v[14:15]
	s_cbranch_vccnz .LBB0_186
; %bb.185:                              ;   in Loop: Header=BB0_39 Depth=1
	global_load_dword v8, v[10:11], off offset:24
	s_waitcnt vmcnt(0)
	v_readfirstlane_b32 s13, v8
	s_and_b32 m0, s13, 0xffffff
	global_store_dwordx2 v[14:15], v[8:9], off
	s_sendmsg sendmsg(MSG_INTERRUPT)
.LBB0_186:                              ;   in Loop: Header=BB0_39 Depth=1
	s_or_b64 exec, exec, s[14:15]
	s_branch .LBB0_190
.LBB0_187:                              ;   in Loop: Header=BB0_190 Depth=2
	s_or_b64 exec, exec, s[14:15]
	v_readfirstlane_b32 s13, v8
	s_cmp_eq_u32 s13, 0
	s_cbranch_scc1 .LBB0_189
; %bb.188:                              ;   in Loop: Header=BB0_190 Depth=2
	s_sleep 1
	s_cbranch_execnz .LBB0_190
	s_branch .LBB0_192
.LBB0_189:                              ;   in Loop: Header=BB0_39 Depth=1
	s_branch .LBB0_192
.LBB0_190:                              ;   Parent Loop BB0_39 Depth=1
                                        ; =>  This Inner Loop Header: Depth=2
	v_mov_b32_e32 v8, 1
	s_and_saveexec_b64 s[14:15], s[6:7]
	s_cbranch_execz .LBB0_187
; %bb.191:                              ;   in Loop: Header=BB0_190 Depth=2
	global_load_dword v8, v[22:23], off offset:20 glc
	s_waitcnt vmcnt(0)
	buffer_wbinvl1_vol
	v_and_b32_e32 v8, 1, v8
	s_branch .LBB0_187
.LBB0_192:                              ;   in Loop: Header=BB0_39 Depth=1
	s_and_saveexec_b64 s[14:15], s[6:7]
	s_cbranch_execz .LBB0_196
; %bb.193:                              ;   in Loop: Header=BB0_39 Depth=1
	global_load_dwordx2 v[10:11], v9, s[20:21] offset:40
	global_load_dwordx2 v[18:19], v9, s[20:21] offset:24 glc
	global_load_dwordx2 v[14:15], v9, s[20:21]
	s_waitcnt vmcnt(2)
	v_readfirstlane_b32 s24, v10
	v_readfirstlane_b32 s25, v11
	s_add_u32 s13, s24, 1
	s_addc_u32 s26, s25, 0
	s_add_u32 s6, s13, s22
	s_addc_u32 s7, s26, s23
	s_cmp_eq_u64 s[6:7], 0
	s_cselect_b32 s7, s26, s7
	s_cselect_b32 s6, s13, s6
	s_and_b64 s[22:23], s[6:7], s[24:25]
	s_mul_i32 s13, s23, 24
	s_mul_hi_u32 s23, s22, 24
	s_mul_i32 s22, s22, 24
	s_add_i32 s13, s23, s13
	v_mov_b32_e32 v8, s13
	s_waitcnt vmcnt(0)
	v_add_co_u32_e32 v10, vcc, s22, v14
	v_addc_co_u32_e32 v11, vcc, v15, v8, vcc
	v_mov_b32_e32 v16, s6
	global_store_dwordx2 v[10:11], v[18:19], off
	v_mov_b32_e32 v17, s7
	s_waitcnt vmcnt(0)
	global_atomic_cmpswap_x2 v[16:17], v9, v[16:19], s[20:21] offset:24 glc
	s_waitcnt vmcnt(0)
	v_cmp_ne_u64_e32 vcc, v[16:17], v[18:19]
	s_and_b64 exec, exec, vcc
	s_cbranch_execz .LBB0_196
; %bb.194:                              ;   in Loop: Header=BB0_39 Depth=1
	s_mov_b64 s[22:23], 0
.LBB0_195:                              ;   Parent Loop BB0_39 Depth=1
                                        ; =>  This Inner Loop Header: Depth=2
	s_sleep 1
	global_store_dwordx2 v[10:11], v[16:17], off
	v_mov_b32_e32 v14, s6
	v_mov_b32_e32 v15, s7
	s_waitcnt vmcnt(0)
	global_atomic_cmpswap_x2 v[14:15], v9, v[14:17], s[20:21] offset:24 glc
	s_waitcnt vmcnt(0)
	v_cmp_eq_u64_e32 vcc, v[14:15], v[16:17]
	v_mov_b32_e32 v17, v15
	s_or_b64 s[22:23], vcc, s[22:23]
	v_mov_b32_e32 v16, v14
	s_andn2_b64 exec, exec, s[22:23]
	s_cbranch_execnz .LBB0_195
.LBB0_196:                              ;   in Loop: Header=BB0_39 Depth=1
	s_or_b64 exec, exec, s[14:15]
.LBB0_197:                              ;   in Loop: Header=BB0_39 Depth=1
	v_readfirstlane_b32 s6, v38
	v_mov_b32_e32 v10, 0
	v_mov_b32_e32 v11, 0
	v_cmp_eq_u32_e64 s[6:7], s6, v38
	s_and_saveexec_b64 s[14:15], s[6:7]
	s_cbranch_execz .LBB0_203
; %bb.198:                              ;   in Loop: Header=BB0_39 Depth=1
	global_load_dwordx2 v[16:17], v9, s[20:21] offset:24 glc
	s_waitcnt vmcnt(0)
	buffer_wbinvl1_vol
	global_load_dwordx2 v[10:11], v9, s[20:21] offset:40
	global_load_dwordx2 v[14:15], v9, s[20:21]
	s_waitcnt vmcnt(1)
	v_and_b32_e32 v8, v10, v16
	v_and_b32_e32 v10, v11, v17
	v_mul_lo_u32 v10, v10, 24
	v_mul_hi_u32 v11, v8, 24
	v_mul_lo_u32 v8, v8, 24
	v_add_u32_e32 v11, v11, v10
	s_waitcnt vmcnt(0)
	v_add_co_u32_e32 v10, vcc, v14, v8
	v_addc_co_u32_e32 v11, vcc, v15, v11, vcc
	global_load_dwordx2 v[14:15], v[10:11], off glc
	s_waitcnt vmcnt(0)
	global_atomic_cmpswap_x2 v[10:11], v9, v[14:17], s[20:21] offset:24 glc
	s_waitcnt vmcnt(0)
	buffer_wbinvl1_vol
	v_cmp_ne_u64_e32 vcc, v[10:11], v[16:17]
	s_and_saveexec_b64 s[22:23], vcc
	s_cbranch_execz .LBB0_202
; %bb.199:                              ;   in Loop: Header=BB0_39 Depth=1
	s_mov_b64 s[24:25], 0
.LBB0_200:                              ;   Parent Loop BB0_39 Depth=1
                                        ; =>  This Inner Loop Header: Depth=2
	s_sleep 1
	global_load_dwordx2 v[14:15], v9, s[20:21] offset:40
	global_load_dwordx2 v[18:19], v9, s[20:21]
	v_mov_b32_e32 v17, v11
	v_mov_b32_e32 v16, v10
	s_waitcnt vmcnt(1)
	v_and_b32_e32 v8, v14, v16
	s_waitcnt vmcnt(0)
	v_mad_u64_u32 v[10:11], s[26:27], v8, 24, v[18:19]
	v_and_b32_e32 v14, v15, v17
	v_mov_b32_e32 v8, v11
	v_mad_u64_u32 v[14:15], s[26:27], v14, 24, v[8:9]
	v_mov_b32_e32 v11, v14
	global_load_dwordx2 v[14:15], v[10:11], off glc
	s_waitcnt vmcnt(0)
	global_atomic_cmpswap_x2 v[10:11], v9, v[14:17], s[20:21] offset:24 glc
	s_waitcnt vmcnt(0)
	buffer_wbinvl1_vol
	v_cmp_eq_u64_e32 vcc, v[10:11], v[16:17]
	s_or_b64 s[24:25], vcc, s[24:25]
	s_andn2_b64 exec, exec, s[24:25]
	s_cbranch_execnz .LBB0_200
; %bb.201:                              ;   in Loop: Header=BB0_39 Depth=1
	s_or_b64 exec, exec, s[24:25]
.LBB0_202:                              ;   in Loop: Header=BB0_39 Depth=1
	s_or_b64 exec, exec, s[22:23]
.LBB0_203:                              ;   in Loop: Header=BB0_39 Depth=1
	s_or_b64 exec, exec, s[14:15]
	global_load_dwordx2 v[18:19], v9, s[20:21] offset:40
	global_load_dwordx4 v[14:17], v9, s[20:21]
	v_readfirstlane_b32 s23, v11
	v_readfirstlane_b32 s22, v10
	s_mov_b64 s[14:15], exec
	s_waitcnt vmcnt(1)
	v_readfirstlane_b32 s24, v18
	v_readfirstlane_b32 s25, v19
	s_and_b64 s[24:25], s[24:25], s[22:23]
	s_mul_i32 s13, s25, 24
	s_mul_hi_u32 s26, s24, 24
	s_mul_i32 s27, s24, 24
	s_add_i32 s13, s26, s13
	v_mov_b32_e32 v8, s13
	s_waitcnt vmcnt(0)
	v_add_co_u32_e32 v18, vcc, s27, v14
	v_addc_co_u32_e32 v19, vcc, v15, v8, vcc
	s_and_saveexec_b64 s[26:27], s[6:7]
	s_cbranch_execz .LBB0_205
; %bb.204:                              ;   in Loop: Header=BB0_39 Depth=1
	v_mov_b32_e32 v10, s14
	v_mov_b32_e32 v11, s15
	global_store_dwordx4 v[18:19], v[10:13], off offset:8
.LBB0_205:                              ;   in Loop: Header=BB0_39 Depth=1
	s_or_b64 exec, exec, s[26:27]
	s_lshl_b64 s[14:15], s[24:25], 12
	v_mov_b32_e32 v8, s15
	v_add_co_u32_e32 v20, vcc, s14, v16
	s_mov_b32 s15, s12
	v_addc_co_u32_e32 v21, vcc, v17, v8, vcc
	s_mov_b32 s13, s12
	s_mov_b32 s14, s12
	v_mov_b32_e32 v25, s15
	v_mov_b32_e32 v8, v9
	;; [unrolled: 1-line block ×3, first 2 shown]
	v_readfirstlane_b32 s24, v20
	v_readfirstlane_b32 s25, v21
	v_mov_b32_e32 v24, s14
	v_mov_b32_e32 v23, s13
	;; [unrolled: 1-line block ×3, first 2 shown]
	s_nop 1
	global_store_dwordx4 v50, v[7:10], s[24:25]
	global_store_dwordx4 v50, v[22:25], s[24:25] offset:16
	global_store_dwordx4 v50, v[22:25], s[24:25] offset:32
	global_store_dwordx4 v50, v[22:25], s[24:25] offset:48
	s_and_saveexec_b64 s[14:15], s[6:7]
	s_cbranch_execz .LBB0_213
; %bb.206:                              ;   in Loop: Header=BB0_39 Depth=1
	global_load_dwordx2 v[24:25], v9, s[20:21] offset:32 glc
	global_load_dwordx2 v[10:11], v9, s[20:21] offset:40
	v_mov_b32_e32 v22, s22
	v_mov_b32_e32 v23, s23
	s_waitcnt vmcnt(0)
	v_readfirstlane_b32 s24, v10
	v_readfirstlane_b32 s25, v11
	s_and_b64 s[24:25], s[24:25], s[22:23]
	s_mul_i32 s13, s25, 24
	s_mul_hi_u32 s25, s24, 24
	s_mul_i32 s24, s24, 24
	s_add_i32 s13, s25, s13
	v_mov_b32_e32 v8, s13
	v_add_co_u32_e32 v10, vcc, s24, v14
	v_addc_co_u32_e32 v11, vcc, v15, v8, vcc
	global_store_dwordx2 v[10:11], v[24:25], off
	s_waitcnt vmcnt(0)
	global_atomic_cmpswap_x2 v[16:17], v9, v[22:25], s[20:21] offset:32 glc
	s_waitcnt vmcnt(0)
	v_cmp_ne_u64_e32 vcc, v[16:17], v[24:25]
	s_and_saveexec_b64 s[24:25], vcc
	s_cbranch_execz .LBB0_209
; %bb.207:                              ;   in Loop: Header=BB0_39 Depth=1
	s_mov_b64 s[26:27], 0
.LBB0_208:                              ;   Parent Loop BB0_39 Depth=1
                                        ; =>  This Inner Loop Header: Depth=2
	s_sleep 1
	global_store_dwordx2 v[10:11], v[16:17], off
	v_mov_b32_e32 v14, s22
	v_mov_b32_e32 v15, s23
	s_waitcnt vmcnt(0)
	global_atomic_cmpswap_x2 v[14:15], v9, v[14:17], s[20:21] offset:32 glc
	s_waitcnt vmcnt(0)
	v_cmp_eq_u64_e32 vcc, v[14:15], v[16:17]
	v_mov_b32_e32 v17, v15
	s_or_b64 s[26:27], vcc, s[26:27]
	v_mov_b32_e32 v16, v14
	s_andn2_b64 exec, exec, s[26:27]
	s_cbranch_execnz .LBB0_208
.LBB0_209:                              ;   in Loop: Header=BB0_39 Depth=1
	s_or_b64 exec, exec, s[24:25]
	global_load_dwordx2 v[10:11], v9, s[20:21] offset:16
	s_mov_b64 s[26:27], exec
	v_mbcnt_lo_u32_b32 v8, s26, 0
	v_mbcnt_hi_u32_b32 v8, s27, v8
	v_cmp_eq_u32_e32 vcc, 0, v8
	s_and_saveexec_b64 s[24:25], vcc
	s_cbranch_execz .LBB0_211
; %bb.210:                              ;   in Loop: Header=BB0_39 Depth=1
	s_bcnt1_i32_b64 s13, s[26:27]
	v_mov_b32_e32 v8, s13
	s_waitcnt vmcnt(0)
	global_atomic_add_x2 v[10:11], v[8:9], off offset:8
.LBB0_211:                              ;   in Loop: Header=BB0_39 Depth=1
	s_or_b64 exec, exec, s[24:25]
	s_waitcnt vmcnt(0)
	global_load_dwordx2 v[14:15], v[10:11], off offset:16
	s_waitcnt vmcnt(0)
	v_cmp_eq_u64_e32 vcc, 0, v[14:15]
	s_cbranch_vccnz .LBB0_213
; %bb.212:                              ;   in Loop: Header=BB0_39 Depth=1
	global_load_dword v8, v[10:11], off offset:24
	s_waitcnt vmcnt(0)
	v_readfirstlane_b32 s13, v8
	s_and_b32 m0, s13, 0xffffff
	global_store_dwordx2 v[14:15], v[8:9], off
	s_sendmsg sendmsg(MSG_INTERRUPT)
.LBB0_213:                              ;   in Loop: Header=BB0_39 Depth=1
	s_or_b64 exec, exec, s[14:15]
	v_add_co_u32_e32 v10, vcc, v20, v50
	v_addc_co_u32_e32 v11, vcc, 0, v21, vcc
	s_branch .LBB0_217
.LBB0_214:                              ;   in Loop: Header=BB0_217 Depth=2
	s_or_b64 exec, exec, s[14:15]
	v_readfirstlane_b32 s13, v8
	s_cmp_eq_u32 s13, 0
	s_cbranch_scc1 .LBB0_216
; %bb.215:                              ;   in Loop: Header=BB0_217 Depth=2
	s_sleep 1
	s_cbranch_execnz .LBB0_217
	s_branch .LBB0_219
.LBB0_216:                              ;   in Loop: Header=BB0_39 Depth=1
	s_branch .LBB0_219
.LBB0_217:                              ;   Parent Loop BB0_39 Depth=1
                                        ; =>  This Inner Loop Header: Depth=2
	v_mov_b32_e32 v8, 1
	s_and_saveexec_b64 s[14:15], s[6:7]
	s_cbranch_execz .LBB0_214
; %bb.218:                              ;   in Loop: Header=BB0_217 Depth=2
	global_load_dword v8, v[18:19], off offset:20 glc
	s_waitcnt vmcnt(0)
	buffer_wbinvl1_vol
	v_and_b32_e32 v8, 1, v8
	s_branch .LBB0_214
.LBB0_219:                              ;   in Loop: Header=BB0_39 Depth=1
	global_load_dwordx2 v[14:15], v[10:11], off
	s_and_saveexec_b64 s[14:15], s[6:7]
	s_cbranch_execz .LBB0_223
; %bb.220:                              ;   in Loop: Header=BB0_39 Depth=1
	global_load_dwordx2 v[10:11], v9, s[20:21] offset:40
	global_load_dwordx2 v[20:21], v9, s[20:21] offset:24 glc
	global_load_dwordx2 v[16:17], v9, s[20:21]
	s_waitcnt vmcnt(2)
	v_readfirstlane_b32 s24, v10
	v_readfirstlane_b32 s25, v11
	s_add_u32 s13, s24, 1
	s_addc_u32 s26, s25, 0
	s_add_u32 s6, s13, s22
	s_addc_u32 s7, s26, s23
	s_cmp_eq_u64 s[6:7], 0
	s_cselect_b32 s7, s26, s7
	s_cselect_b32 s6, s13, s6
	s_and_b64 s[22:23], s[6:7], s[24:25]
	s_mul_i32 s13, s23, 24
	s_mul_hi_u32 s23, s22, 24
	s_mul_i32 s22, s22, 24
	s_add_i32 s13, s23, s13
	v_mov_b32_e32 v8, s13
	s_waitcnt vmcnt(0)
	v_add_co_u32_e32 v10, vcc, s22, v16
	v_addc_co_u32_e32 v11, vcc, v17, v8, vcc
	v_mov_b32_e32 v18, s6
	global_store_dwordx2 v[10:11], v[20:21], off
	v_mov_b32_e32 v19, s7
	s_waitcnt vmcnt(0)
	global_atomic_cmpswap_x2 v[18:19], v9, v[18:21], s[20:21] offset:24 glc
	s_waitcnt vmcnt(0)
	v_cmp_ne_u64_e32 vcc, v[18:19], v[20:21]
	s_and_b64 exec, exec, vcc
	s_cbranch_execz .LBB0_223
; %bb.221:                              ;   in Loop: Header=BB0_39 Depth=1
	s_mov_b64 s[22:23], 0
.LBB0_222:                              ;   Parent Loop BB0_39 Depth=1
                                        ; =>  This Inner Loop Header: Depth=2
	s_sleep 1
	global_store_dwordx2 v[10:11], v[18:19], off
	v_mov_b32_e32 v16, s6
	v_mov_b32_e32 v17, s7
	s_waitcnt vmcnt(0)
	global_atomic_cmpswap_x2 v[16:17], v9, v[16:19], s[20:21] offset:24 glc
	s_waitcnt vmcnt(0)
	v_cmp_eq_u64_e32 vcc, v[16:17], v[18:19]
	v_mov_b32_e32 v19, v17
	s_or_b64 s[22:23], vcc, s[22:23]
	v_mov_b32_e32 v18, v16
	s_andn2_b64 exec, exec, s[22:23]
	s_cbranch_execnz .LBB0_222
.LBB0_223:                              ;   in Loop: Header=BB0_39 Depth=1
	s_or_b64 exec, exec, s[14:15]
	s_and_b64 vcc, exec, s[10:11]
	s_cbranch_vccz .LBB0_309
; %bb.224:                              ;   in Loop: Header=BB0_39 Depth=1
	s_waitcnt vmcnt(0)
	v_and_b32_e32 v16, -3, v14
	v_mov_b32_e32 v17, v15
	s_mov_b64 s[22:23], 39
	s_getpc_b64 s[14:15]
	s_add_u32 s14, s14, .str.2@rel32@lo+4
	s_addc_u32 s15, s15, .str.2@rel32@hi+12
	s_branch .LBB0_226
.LBB0_225:                              ;   in Loop: Header=BB0_226 Depth=2
	s_or_b64 exec, exec, s[28:29]
	s_sub_u32 s22, s22, s24
	s_subb_u32 s23, s23, s25
	s_add_u32 s14, s14, s24
	s_addc_u32 s15, s15, s25
	s_cmp_lg_u64 s[22:23], 0
	s_cbranch_scc0 .LBB0_308
.LBB0_226:                              ;   Parent Loop BB0_39 Depth=1
                                        ; =>  This Loop Header: Depth=2
                                        ;       Child Loop BB0_229 Depth 3
                                        ;       Child Loop BB0_237 Depth 3
	;; [unrolled: 1-line block ×11, first 2 shown]
	v_cmp_lt_u64_e64 s[6:7], s[22:23], 56
	v_cmp_gt_u64_e64 s[26:27], s[22:23], 7
	s_and_b64 s[6:7], s[6:7], exec
	s_cselect_b32 s25, s23, 0
	s_cselect_b32 s24, s22, 56
	s_add_u32 s6, s14, 8
	s_addc_u32 s7, s15, 0
	s_and_b64 vcc, exec, s[26:27]
	s_cbranch_vccnz .LBB0_230
; %bb.227:                              ;   in Loop: Header=BB0_226 Depth=2
	s_cmp_eq_u64 s[22:23], 0
	s_cbranch_scc1 .LBB0_231
; %bb.228:                              ;   in Loop: Header=BB0_226 Depth=2
	s_waitcnt vmcnt(0)
	v_mov_b32_e32 v18, 0
	s_lshl_b64 s[6:7], s[24:25], 3
	s_mov_b64 s[26:27], 0
	v_mov_b32_e32 v19, 0
	s_mov_b64 s[28:29], s[14:15]
.LBB0_229:                              ;   Parent Loop BB0_39 Depth=1
                                        ;     Parent Loop BB0_226 Depth=2
                                        ; =>    This Inner Loop Header: Depth=3
	global_load_ubyte v8, v9, s[28:29]
	s_waitcnt vmcnt(0)
	v_and_b32_e32 v8, 0xffff, v8
	v_lshlrev_b64 v[10:11], s26, v[8:9]
	s_add_u32 s26, s26, 8
	s_addc_u32 s27, s27, 0
	s_add_u32 s28, s28, 1
	s_addc_u32 s29, s29, 0
	v_or_b32_e32 v18, v10, v18
	s_cmp_lg_u32 s6, s26
	v_or_b32_e32 v19, v11, v19
	s_cbranch_scc1 .LBB0_229
	s_branch .LBB0_232
.LBB0_230:                              ;   in Loop: Header=BB0_226 Depth=2
	s_mov_b32 s13, 0
	s_branch .LBB0_233
.LBB0_231:                              ;   in Loop: Header=BB0_226 Depth=2
	s_waitcnt vmcnt(0)
	v_mov_b32_e32 v18, 0
	v_mov_b32_e32 v19, 0
.LBB0_232:                              ;   in Loop: Header=BB0_226 Depth=2
	s_mov_b64 s[6:7], s[14:15]
	s_mov_b32 s13, 0
	s_cbranch_execnz .LBB0_234
.LBB0_233:                              ;   in Loop: Header=BB0_226 Depth=2
	global_load_dwordx2 v[18:19], v9, s[14:15]
	s_add_i32 s13, s24, -8
.LBB0_234:                              ;   in Loop: Header=BB0_226 Depth=2
	s_add_u32 s26, s6, 8
	s_addc_u32 s27, s7, 0
	s_cmp_gt_u32 s13, 7
	s_cbranch_scc1 .LBB0_238
; %bb.235:                              ;   in Loop: Header=BB0_226 Depth=2
	s_cmp_eq_u32 s13, 0
	s_cbranch_scc1 .LBB0_239
; %bb.236:                              ;   in Loop: Header=BB0_226 Depth=2
	v_mov_b32_e32 v20, 0
	s_mov_b64 s[26:27], 0
	v_mov_b32_e32 v21, 0
	s_mov_b64 s[28:29], 0
.LBB0_237:                              ;   Parent Loop BB0_39 Depth=1
                                        ;     Parent Loop BB0_226 Depth=2
                                        ; =>    This Inner Loop Header: Depth=3
	s_add_u32 s40, s6, s28
	s_addc_u32 s41, s7, s29
	global_load_ubyte v8, v9, s[40:41]
	s_add_u32 s28, s28, 1
	s_addc_u32 s29, s29, 0
	s_waitcnt vmcnt(0)
	v_and_b32_e32 v8, 0xffff, v8
	v_lshlrev_b64 v[10:11], s26, v[8:9]
	s_add_u32 s26, s26, 8
	s_addc_u32 s27, s27, 0
	v_or_b32_e32 v20, v10, v20
	s_cmp_lg_u32 s13, s28
	v_or_b32_e32 v21, v11, v21
	s_cbranch_scc1 .LBB0_237
	s_branch .LBB0_240
.LBB0_238:                              ;   in Loop: Header=BB0_226 Depth=2
                                        ; implicit-def: $vgpr20_vgpr21
	s_mov_b32 s40, 0
	s_branch .LBB0_241
.LBB0_239:                              ;   in Loop: Header=BB0_226 Depth=2
	v_mov_b32_e32 v20, 0
	v_mov_b32_e32 v21, 0
.LBB0_240:                              ;   in Loop: Header=BB0_226 Depth=2
	s_mov_b64 s[26:27], s[6:7]
	s_mov_b32 s40, 0
	s_cbranch_execnz .LBB0_242
.LBB0_241:                              ;   in Loop: Header=BB0_226 Depth=2
	global_load_dwordx2 v[20:21], v9, s[6:7]
	s_add_i32 s40, s13, -8
.LBB0_242:                              ;   in Loop: Header=BB0_226 Depth=2
	s_add_u32 s6, s26, 8
	s_addc_u32 s7, s27, 0
	s_cmp_gt_u32 s40, 7
	s_cbranch_scc1 .LBB0_246
; %bb.243:                              ;   in Loop: Header=BB0_226 Depth=2
	s_cmp_eq_u32 s40, 0
	s_cbranch_scc1 .LBB0_247
; %bb.244:                              ;   in Loop: Header=BB0_226 Depth=2
	v_mov_b32_e32 v22, 0
	s_mov_b64 s[6:7], 0
	v_mov_b32_e32 v23, 0
	s_mov_b64 s[28:29], 0
.LBB0_245:                              ;   Parent Loop BB0_39 Depth=1
                                        ;     Parent Loop BB0_226 Depth=2
                                        ; =>    This Inner Loop Header: Depth=3
	s_add_u32 s42, s26, s28
	s_addc_u32 s43, s27, s29
	global_load_ubyte v8, v9, s[42:43]
	s_add_u32 s28, s28, 1
	s_addc_u32 s29, s29, 0
	s_waitcnt vmcnt(0)
	v_and_b32_e32 v8, 0xffff, v8
	v_lshlrev_b64 v[10:11], s6, v[8:9]
	s_add_u32 s6, s6, 8
	s_addc_u32 s7, s7, 0
	v_or_b32_e32 v22, v10, v22
	s_cmp_lg_u32 s40, s28
	v_or_b32_e32 v23, v11, v23
	s_cbranch_scc1 .LBB0_245
	s_branch .LBB0_248
.LBB0_246:                              ;   in Loop: Header=BB0_226 Depth=2
	s_mov_b32 s13, 0
	s_branch .LBB0_249
.LBB0_247:                              ;   in Loop: Header=BB0_226 Depth=2
	v_mov_b32_e32 v22, 0
	v_mov_b32_e32 v23, 0
.LBB0_248:                              ;   in Loop: Header=BB0_226 Depth=2
	s_mov_b64 s[6:7], s[26:27]
	s_mov_b32 s13, 0
	s_cbranch_execnz .LBB0_250
.LBB0_249:                              ;   in Loop: Header=BB0_226 Depth=2
	global_load_dwordx2 v[22:23], v9, s[26:27]
	s_add_i32 s13, s40, -8
.LBB0_250:                              ;   in Loop: Header=BB0_226 Depth=2
	s_add_u32 s26, s6, 8
	s_addc_u32 s27, s7, 0
	s_cmp_gt_u32 s13, 7
	s_cbranch_scc1 .LBB0_254
; %bb.251:                              ;   in Loop: Header=BB0_226 Depth=2
	s_cmp_eq_u32 s13, 0
	s_cbranch_scc1 .LBB0_255
; %bb.252:                              ;   in Loop: Header=BB0_226 Depth=2
	v_mov_b32_e32 v24, 0
	s_mov_b64 s[26:27], 0
	v_mov_b32_e32 v25, 0
	s_mov_b64 s[28:29], 0
.LBB0_253:                              ;   Parent Loop BB0_39 Depth=1
                                        ;     Parent Loop BB0_226 Depth=2
                                        ; =>    This Inner Loop Header: Depth=3
	s_add_u32 s40, s6, s28
	s_addc_u32 s41, s7, s29
	global_load_ubyte v8, v9, s[40:41]
	s_add_u32 s28, s28, 1
	s_addc_u32 s29, s29, 0
	s_waitcnt vmcnt(0)
	v_and_b32_e32 v8, 0xffff, v8
	v_lshlrev_b64 v[10:11], s26, v[8:9]
	s_add_u32 s26, s26, 8
	s_addc_u32 s27, s27, 0
	v_or_b32_e32 v24, v10, v24
	s_cmp_lg_u32 s13, s28
	v_or_b32_e32 v25, v11, v25
	s_cbranch_scc1 .LBB0_253
	s_branch .LBB0_256
.LBB0_254:                              ;   in Loop: Header=BB0_226 Depth=2
                                        ; implicit-def: $vgpr24_vgpr25
	s_mov_b32 s40, 0
	s_branch .LBB0_257
.LBB0_255:                              ;   in Loop: Header=BB0_226 Depth=2
	v_mov_b32_e32 v24, 0
	v_mov_b32_e32 v25, 0
.LBB0_256:                              ;   in Loop: Header=BB0_226 Depth=2
	s_mov_b64 s[26:27], s[6:7]
	s_mov_b32 s40, 0
	s_cbranch_execnz .LBB0_258
.LBB0_257:                              ;   in Loop: Header=BB0_226 Depth=2
	global_load_dwordx2 v[24:25], v9, s[6:7]
	s_add_i32 s40, s13, -8
.LBB0_258:                              ;   in Loop: Header=BB0_226 Depth=2
	s_add_u32 s6, s26, 8
	s_addc_u32 s7, s27, 0
	s_cmp_gt_u32 s40, 7
	s_cbranch_scc1 .LBB0_262
; %bb.259:                              ;   in Loop: Header=BB0_226 Depth=2
	s_cmp_eq_u32 s40, 0
	s_cbranch_scc1 .LBB0_263
; %bb.260:                              ;   in Loop: Header=BB0_226 Depth=2
	v_mov_b32_e32 v26, 0
	s_mov_b64 s[6:7], 0
	v_mov_b32_e32 v27, 0
	s_mov_b64 s[28:29], 0
.LBB0_261:                              ;   Parent Loop BB0_39 Depth=1
                                        ;     Parent Loop BB0_226 Depth=2
                                        ; =>    This Inner Loop Header: Depth=3
	s_add_u32 s42, s26, s28
	s_addc_u32 s43, s27, s29
	global_load_ubyte v8, v9, s[42:43]
	s_add_u32 s28, s28, 1
	s_addc_u32 s29, s29, 0
	s_waitcnt vmcnt(0)
	v_and_b32_e32 v8, 0xffff, v8
	v_lshlrev_b64 v[10:11], s6, v[8:9]
	s_add_u32 s6, s6, 8
	s_addc_u32 s7, s7, 0
	v_or_b32_e32 v26, v10, v26
	s_cmp_lg_u32 s40, s28
	v_or_b32_e32 v27, v11, v27
	s_cbranch_scc1 .LBB0_261
	s_branch .LBB0_264
.LBB0_262:                              ;   in Loop: Header=BB0_226 Depth=2
	s_mov_b32 s13, 0
	s_branch .LBB0_265
.LBB0_263:                              ;   in Loop: Header=BB0_226 Depth=2
	v_mov_b32_e32 v26, 0
	v_mov_b32_e32 v27, 0
.LBB0_264:                              ;   in Loop: Header=BB0_226 Depth=2
	s_mov_b64 s[6:7], s[26:27]
	s_mov_b32 s13, 0
	s_cbranch_execnz .LBB0_266
.LBB0_265:                              ;   in Loop: Header=BB0_226 Depth=2
	global_load_dwordx2 v[26:27], v9, s[26:27]
	s_add_i32 s13, s40, -8
.LBB0_266:                              ;   in Loop: Header=BB0_226 Depth=2
	s_add_u32 s26, s6, 8
	s_addc_u32 s27, s7, 0
	s_cmp_gt_u32 s13, 7
	s_cbranch_scc1 .LBB0_270
; %bb.267:                              ;   in Loop: Header=BB0_226 Depth=2
	s_cmp_eq_u32 s13, 0
	s_cbranch_scc1 .LBB0_271
; %bb.268:                              ;   in Loop: Header=BB0_226 Depth=2
	v_mov_b32_e32 v28, 0
	s_mov_b64 s[26:27], 0
	v_mov_b32_e32 v29, 0
	s_mov_b64 s[28:29], 0
.LBB0_269:                              ;   Parent Loop BB0_39 Depth=1
                                        ;     Parent Loop BB0_226 Depth=2
                                        ; =>    This Inner Loop Header: Depth=3
	s_add_u32 s40, s6, s28
	s_addc_u32 s41, s7, s29
	global_load_ubyte v8, v9, s[40:41]
	s_add_u32 s28, s28, 1
	s_addc_u32 s29, s29, 0
	s_waitcnt vmcnt(0)
	v_and_b32_e32 v8, 0xffff, v8
	v_lshlrev_b64 v[10:11], s26, v[8:9]
	s_add_u32 s26, s26, 8
	s_addc_u32 s27, s27, 0
	v_or_b32_e32 v28, v10, v28
	s_cmp_lg_u32 s13, s28
	v_or_b32_e32 v29, v11, v29
	s_cbranch_scc1 .LBB0_269
	s_branch .LBB0_272
.LBB0_270:                              ;   in Loop: Header=BB0_226 Depth=2
                                        ; implicit-def: $vgpr28_vgpr29
	s_mov_b32 s40, 0
	s_branch .LBB0_273
.LBB0_271:                              ;   in Loop: Header=BB0_226 Depth=2
	v_mov_b32_e32 v28, 0
	v_mov_b32_e32 v29, 0
.LBB0_272:                              ;   in Loop: Header=BB0_226 Depth=2
	s_mov_b64 s[26:27], s[6:7]
	s_mov_b32 s40, 0
	s_cbranch_execnz .LBB0_274
.LBB0_273:                              ;   in Loop: Header=BB0_226 Depth=2
	global_load_dwordx2 v[28:29], v9, s[6:7]
	s_add_i32 s40, s13, -8
.LBB0_274:                              ;   in Loop: Header=BB0_226 Depth=2
	s_cmp_gt_u32 s40, 7
	s_cbranch_scc1 .LBB0_278
; %bb.275:                              ;   in Loop: Header=BB0_226 Depth=2
	s_cmp_eq_u32 s40, 0
	s_cbranch_scc1 .LBB0_279
; %bb.276:                              ;   in Loop: Header=BB0_226 Depth=2
	v_mov_b32_e32 v30, 0
	s_mov_b64 s[6:7], 0
	v_mov_b32_e32 v31, 0
	s_mov_b64 s[28:29], s[26:27]
.LBB0_277:                              ;   Parent Loop BB0_39 Depth=1
                                        ;     Parent Loop BB0_226 Depth=2
                                        ; =>    This Inner Loop Header: Depth=3
	global_load_ubyte v8, v9, s[28:29]
	s_add_i32 s40, s40, -1
	s_waitcnt vmcnt(0)
	v_and_b32_e32 v8, 0xffff, v8
	v_lshlrev_b64 v[10:11], s6, v[8:9]
	s_add_u32 s6, s6, 8
	s_addc_u32 s7, s7, 0
	s_add_u32 s28, s28, 1
	s_addc_u32 s29, s29, 0
	v_or_b32_e32 v30, v10, v30
	s_cmp_lg_u32 s40, 0
	v_or_b32_e32 v31, v11, v31
	s_cbranch_scc1 .LBB0_277
	s_branch .LBB0_280
.LBB0_278:                              ;   in Loop: Header=BB0_226 Depth=2
	s_branch .LBB0_281
.LBB0_279:                              ;   in Loop: Header=BB0_226 Depth=2
	v_mov_b32_e32 v30, 0
	v_mov_b32_e32 v31, 0
.LBB0_280:                              ;   in Loop: Header=BB0_226 Depth=2
	s_cbranch_execnz .LBB0_282
.LBB0_281:                              ;   in Loop: Header=BB0_226 Depth=2
	global_load_dwordx2 v[30:31], v9, s[26:27]
.LBB0_282:                              ;   in Loop: Header=BB0_226 Depth=2
	v_readfirstlane_b32 s6, v38
	v_mov_b32_e32 v10, 0
	v_mov_b32_e32 v11, 0
	v_cmp_eq_u32_e64 s[6:7], s6, v38
	s_and_saveexec_b64 s[26:27], s[6:7]
	s_cbranch_execz .LBB0_288
; %bb.283:                              ;   in Loop: Header=BB0_226 Depth=2
	global_load_dwordx2 v[34:35], v9, s[20:21] offset:24 glc
	s_waitcnt vmcnt(0)
	buffer_wbinvl1_vol
	global_load_dwordx2 v[10:11], v9, s[20:21] offset:40
	global_load_dwordx2 v[32:33], v9, s[20:21]
	s_waitcnt vmcnt(1)
	v_and_b32_e32 v8, v10, v34
	v_and_b32_e32 v10, v11, v35
	v_mul_lo_u32 v10, v10, 24
	v_mul_hi_u32 v11, v8, 24
	v_mul_lo_u32 v8, v8, 24
	v_add_u32_e32 v11, v11, v10
	s_waitcnt vmcnt(0)
	v_add_co_u32_e32 v10, vcc, v32, v8
	v_addc_co_u32_e32 v11, vcc, v33, v11, vcc
	global_load_dwordx2 v[32:33], v[10:11], off glc
	s_waitcnt vmcnt(0)
	global_atomic_cmpswap_x2 v[10:11], v9, v[32:35], s[20:21] offset:24 glc
	s_waitcnt vmcnt(0)
	buffer_wbinvl1_vol
	v_cmp_ne_u64_e32 vcc, v[10:11], v[34:35]
	s_and_saveexec_b64 s[28:29], vcc
	s_cbranch_execz .LBB0_287
; %bb.284:                              ;   in Loop: Header=BB0_226 Depth=2
	s_mov_b64 s[40:41], 0
.LBB0_285:                              ;   Parent Loop BB0_39 Depth=1
                                        ;     Parent Loop BB0_226 Depth=2
                                        ; =>    This Inner Loop Header: Depth=3
	s_sleep 1
	global_load_dwordx2 v[32:33], v9, s[20:21] offset:40
	global_load_dwordx2 v[36:37], v9, s[20:21]
	v_mov_b32_e32 v35, v11
	v_mov_b32_e32 v34, v10
	s_waitcnt vmcnt(1)
	v_and_b32_e32 v8, v32, v34
	s_waitcnt vmcnt(0)
	v_mad_u64_u32 v[10:11], s[42:43], v8, 24, v[36:37]
	v_and_b32_e32 v32, v33, v35
	v_mov_b32_e32 v8, v11
	v_mad_u64_u32 v[32:33], s[42:43], v32, 24, v[8:9]
	v_mov_b32_e32 v11, v32
	global_load_dwordx2 v[32:33], v[10:11], off glc
	s_waitcnt vmcnt(0)
	global_atomic_cmpswap_x2 v[10:11], v9, v[32:35], s[20:21] offset:24 glc
	s_waitcnt vmcnt(0)
	buffer_wbinvl1_vol
	v_cmp_eq_u64_e32 vcc, v[10:11], v[34:35]
	s_or_b64 s[40:41], vcc, s[40:41]
	s_andn2_b64 exec, exec, s[40:41]
	s_cbranch_execnz .LBB0_285
; %bb.286:                              ;   in Loop: Header=BB0_226 Depth=2
	s_or_b64 exec, exec, s[40:41]
.LBB0_287:                              ;   in Loop: Header=BB0_226 Depth=2
	s_or_b64 exec, exec, s[28:29]
.LBB0_288:                              ;   in Loop: Header=BB0_226 Depth=2
	s_or_b64 exec, exec, s[26:27]
	global_load_dwordx2 v[36:37], v9, s[20:21] offset:40
	global_load_dwordx4 v[32:35], v9, s[20:21]
	v_readfirstlane_b32 s27, v11
	v_readfirstlane_b32 s26, v10
	s_mov_b64 s[28:29], exec
	s_waitcnt vmcnt(1)
	v_readfirstlane_b32 s40, v36
	v_readfirstlane_b32 s41, v37
	s_and_b64 s[40:41], s[40:41], s[26:27]
	s_mul_i32 s13, s41, 24
	s_mul_hi_u32 s42, s40, 24
	s_mul_i32 s43, s40, 24
	s_add_i32 s13, s42, s13
	v_mov_b32_e32 v8, s13
	s_waitcnt vmcnt(0)
	v_add_co_u32_e32 v36, vcc, s43, v32
	v_addc_co_u32_e32 v37, vcc, v33, v8, vcc
	s_and_saveexec_b64 s[42:43], s[6:7]
	s_cbranch_execz .LBB0_290
; %bb.289:                              ;   in Loop: Header=BB0_226 Depth=2
	v_mov_b32_e32 v10, s28
	v_mov_b32_e32 v11, s29
	global_store_dwordx4 v[36:37], v[10:13], off offset:8
.LBB0_290:                              ;   in Loop: Header=BB0_226 Depth=2
	s_or_b64 exec, exec, s[42:43]
	s_lshl_b64 s[28:29], s[40:41], 12
	v_cmp_gt_u64_e64 s[40:41], s[22:23], 56
	v_mov_b32_e32 v8, s29
	v_add_co_u32_e32 v34, vcc, s28, v34
	s_and_b64 s[28:29], s[40:41], exec
	s_cselect_b32 s13, 0, 2
	s_lshl_b32 s28, s24, 2
	v_addc_co_u32_e32 v35, vcc, v35, v8, vcc
	s_add_i32 s28, s28, 28
	v_and_b32_e32 v8, 0xffffff1f, v16
	s_and_b32 s28, s28, 0x1e0
	v_or_b32_e32 v8, s13, v8
	v_or_b32_e32 v16, s28, v8
	v_readfirstlane_b32 s28, v34
	v_readfirstlane_b32 s29, v35
	s_nop 4
	global_store_dwordx4 v50, v[16:19], s[28:29]
	global_store_dwordx4 v50, v[20:23], s[28:29] offset:16
	global_store_dwordx4 v50, v[24:27], s[28:29] offset:32
	;; [unrolled: 1-line block ×3, first 2 shown]
	s_and_saveexec_b64 s[28:29], s[6:7]
	s_cbranch_execz .LBB0_298
; %bb.291:                              ;   in Loop: Header=BB0_226 Depth=2
	global_load_dwordx2 v[20:21], v9, s[20:21] offset:32 glc
	global_load_dwordx2 v[10:11], v9, s[20:21] offset:40
	v_mov_b32_e32 v18, s26
	v_mov_b32_e32 v19, s27
	s_waitcnt vmcnt(0)
	v_readfirstlane_b32 s40, v10
	v_readfirstlane_b32 s41, v11
	s_and_b64 s[40:41], s[40:41], s[26:27]
	s_mul_i32 s13, s41, 24
	s_mul_hi_u32 s41, s40, 24
	s_mul_i32 s40, s40, 24
	s_add_i32 s13, s41, s13
	v_mov_b32_e32 v8, s13
	v_add_co_u32_e32 v10, vcc, s40, v32
	v_addc_co_u32_e32 v11, vcc, v33, v8, vcc
	global_store_dwordx2 v[10:11], v[20:21], off
	s_waitcnt vmcnt(0)
	global_atomic_cmpswap_x2 v[18:19], v9, v[18:21], s[20:21] offset:32 glc
	s_waitcnt vmcnt(0)
	v_cmp_ne_u64_e32 vcc, v[18:19], v[20:21]
	s_and_saveexec_b64 s[40:41], vcc
	s_cbranch_execz .LBB0_294
; %bb.292:                              ;   in Loop: Header=BB0_226 Depth=2
	s_mov_b64 s[42:43], 0
.LBB0_293:                              ;   Parent Loop BB0_39 Depth=1
                                        ;     Parent Loop BB0_226 Depth=2
                                        ; =>    This Inner Loop Header: Depth=3
	s_sleep 1
	global_store_dwordx2 v[10:11], v[18:19], off
	v_mov_b32_e32 v16, s26
	v_mov_b32_e32 v17, s27
	s_waitcnt vmcnt(0)
	global_atomic_cmpswap_x2 v[16:17], v9, v[16:19], s[20:21] offset:32 glc
	s_waitcnt vmcnt(0)
	v_cmp_eq_u64_e32 vcc, v[16:17], v[18:19]
	v_mov_b32_e32 v19, v17
	s_or_b64 s[42:43], vcc, s[42:43]
	v_mov_b32_e32 v18, v16
	s_andn2_b64 exec, exec, s[42:43]
	s_cbranch_execnz .LBB0_293
.LBB0_294:                              ;   in Loop: Header=BB0_226 Depth=2
	s_or_b64 exec, exec, s[40:41]
	global_load_dwordx2 v[10:11], v9, s[20:21] offset:16
	s_mov_b64 s[42:43], exec
	v_mbcnt_lo_u32_b32 v8, s42, 0
	v_mbcnt_hi_u32_b32 v8, s43, v8
	v_cmp_eq_u32_e32 vcc, 0, v8
	s_and_saveexec_b64 s[40:41], vcc
	s_cbranch_execz .LBB0_296
; %bb.295:                              ;   in Loop: Header=BB0_226 Depth=2
	s_bcnt1_i32_b64 s13, s[42:43]
	v_mov_b32_e32 v8, s13
	s_waitcnt vmcnt(0)
	global_atomic_add_x2 v[10:11], v[8:9], off offset:8
.LBB0_296:                              ;   in Loop: Header=BB0_226 Depth=2
	s_or_b64 exec, exec, s[40:41]
	s_waitcnt vmcnt(0)
	global_load_dwordx2 v[16:17], v[10:11], off offset:16
	s_waitcnt vmcnt(0)
	v_cmp_eq_u64_e32 vcc, 0, v[16:17]
	s_cbranch_vccnz .LBB0_298
; %bb.297:                              ;   in Loop: Header=BB0_226 Depth=2
	global_load_dword v8, v[10:11], off offset:24
	s_waitcnt vmcnt(0)
	v_readfirstlane_b32 s13, v8
	s_and_b32 m0, s13, 0xffffff
	global_store_dwordx2 v[16:17], v[8:9], off
	s_sendmsg sendmsg(MSG_INTERRUPT)
.LBB0_298:                              ;   in Loop: Header=BB0_226 Depth=2
	s_or_b64 exec, exec, s[28:29]
	v_add_co_u32_e32 v10, vcc, v34, v50
	v_addc_co_u32_e32 v11, vcc, 0, v35, vcc
	s_branch .LBB0_302
.LBB0_299:                              ;   in Loop: Header=BB0_302 Depth=3
	s_or_b64 exec, exec, s[28:29]
	v_readfirstlane_b32 s13, v8
	s_cmp_eq_u32 s13, 0
	s_cbranch_scc1 .LBB0_301
; %bb.300:                              ;   in Loop: Header=BB0_302 Depth=3
	s_sleep 1
	s_cbranch_execnz .LBB0_302
	s_branch .LBB0_304
.LBB0_301:                              ;   in Loop: Header=BB0_226 Depth=2
	s_branch .LBB0_304
.LBB0_302:                              ;   Parent Loop BB0_39 Depth=1
                                        ;     Parent Loop BB0_226 Depth=2
                                        ; =>    This Inner Loop Header: Depth=3
	v_mov_b32_e32 v8, 1
	s_and_saveexec_b64 s[28:29], s[6:7]
	s_cbranch_execz .LBB0_299
; %bb.303:                              ;   in Loop: Header=BB0_302 Depth=3
	global_load_dword v8, v[36:37], off offset:20 glc
	s_waitcnt vmcnt(0)
	buffer_wbinvl1_vol
	v_and_b32_e32 v8, 1, v8
	s_branch .LBB0_299
.LBB0_304:                              ;   in Loop: Header=BB0_226 Depth=2
	global_load_dwordx4 v[16:19], v[10:11], off
	s_and_saveexec_b64 s[28:29], s[6:7]
	s_cbranch_execz .LBB0_225
; %bb.305:                              ;   in Loop: Header=BB0_226 Depth=2
	global_load_dwordx2 v[10:11], v9, s[20:21] offset:40
	global_load_dwordx2 v[22:23], v9, s[20:21] offset:24 glc
	global_load_dwordx2 v[18:19], v9, s[20:21]
	s_waitcnt vmcnt(2)
	v_readfirstlane_b32 s40, v10
	v_readfirstlane_b32 s41, v11
	s_add_u32 s13, s40, 1
	s_addc_u32 s42, s41, 0
	s_add_u32 s6, s13, s26
	s_addc_u32 s7, s42, s27
	s_cmp_eq_u64 s[6:7], 0
	s_cselect_b32 s7, s42, s7
	s_cselect_b32 s6, s13, s6
	s_and_b64 s[26:27], s[6:7], s[40:41]
	s_mul_i32 s13, s27, 24
	s_mul_hi_u32 s27, s26, 24
	s_mul_i32 s26, s26, 24
	s_add_i32 s13, s27, s13
	v_mov_b32_e32 v8, s13
	s_waitcnt vmcnt(0)
	v_add_co_u32_e32 v10, vcc, s26, v18
	v_addc_co_u32_e32 v11, vcc, v19, v8, vcc
	v_mov_b32_e32 v20, s6
	global_store_dwordx2 v[10:11], v[22:23], off
	v_mov_b32_e32 v21, s7
	s_waitcnt vmcnt(0)
	global_atomic_cmpswap_x2 v[20:21], v9, v[20:23], s[20:21] offset:24 glc
	s_waitcnt vmcnt(0)
	v_cmp_ne_u64_e32 vcc, v[20:21], v[22:23]
	s_and_b64 exec, exec, vcc
	s_cbranch_execz .LBB0_225
; %bb.306:                              ;   in Loop: Header=BB0_226 Depth=2
	s_mov_b64 s[26:27], 0
.LBB0_307:                              ;   Parent Loop BB0_39 Depth=1
                                        ;     Parent Loop BB0_226 Depth=2
                                        ; =>    This Inner Loop Header: Depth=3
	s_sleep 1
	global_store_dwordx2 v[10:11], v[20:21], off
	v_mov_b32_e32 v18, s6
	v_mov_b32_e32 v19, s7
	s_waitcnt vmcnt(0)
	global_atomic_cmpswap_x2 v[18:19], v9, v[18:21], s[20:21] offset:24 glc
	s_waitcnt vmcnt(0)
	v_cmp_eq_u64_e32 vcc, v[18:19], v[20:21]
	v_mov_b32_e32 v21, v19
	s_or_b64 s[26:27], vcc, s[26:27]
	v_mov_b32_e32 v20, v18
	s_andn2_b64 exec, exec, s[26:27]
	s_cbranch_execnz .LBB0_307
	s_branch .LBB0_225
.LBB0_308:                              ;   in Loop: Header=BB0_39 Depth=1
	s_branch .LBB0_337
.LBB0_309:                              ;   in Loop: Header=BB0_39 Depth=1
	s_cbranch_execz .LBB0_337
; %bb.310:                              ;   in Loop: Header=BB0_39 Depth=1
	v_readfirstlane_b32 s6, v38
	v_mov_b32_e32 v10, 0
	v_mov_b32_e32 v11, 0
	v_cmp_eq_u32_e64 s[6:7], s6, v38
	s_and_saveexec_b64 s[14:15], s[6:7]
	s_cbranch_execz .LBB0_316
; %bb.311:                              ;   in Loop: Header=BB0_39 Depth=1
	global_load_dwordx2 v[18:19], v9, s[20:21] offset:24 glc
	s_waitcnt vmcnt(0)
	buffer_wbinvl1_vol
	global_load_dwordx2 v[10:11], v9, s[20:21] offset:40
	global_load_dwordx2 v[16:17], v9, s[20:21]
	s_waitcnt vmcnt(1)
	v_and_b32_e32 v8, v10, v18
	v_and_b32_e32 v10, v11, v19
	v_mul_lo_u32 v10, v10, 24
	v_mul_hi_u32 v11, v8, 24
	v_mul_lo_u32 v8, v8, 24
	v_add_u32_e32 v11, v11, v10
	s_waitcnt vmcnt(0)
	v_add_co_u32_e32 v10, vcc, v16, v8
	v_addc_co_u32_e32 v11, vcc, v17, v11, vcc
	global_load_dwordx2 v[16:17], v[10:11], off glc
	s_waitcnt vmcnt(0)
	global_atomic_cmpswap_x2 v[10:11], v9, v[16:19], s[20:21] offset:24 glc
	s_waitcnt vmcnt(0)
	buffer_wbinvl1_vol
	v_cmp_ne_u64_e32 vcc, v[10:11], v[18:19]
	s_and_saveexec_b64 s[22:23], vcc
	s_cbranch_execz .LBB0_315
; %bb.312:                              ;   in Loop: Header=BB0_39 Depth=1
	s_mov_b64 s[24:25], 0
.LBB0_313:                              ;   Parent Loop BB0_39 Depth=1
                                        ; =>  This Inner Loop Header: Depth=2
	s_sleep 1
	global_load_dwordx2 v[16:17], v9, s[20:21] offset:40
	global_load_dwordx2 v[20:21], v9, s[20:21]
	v_mov_b32_e32 v19, v11
	v_mov_b32_e32 v18, v10
	s_waitcnt vmcnt(1)
	v_and_b32_e32 v8, v16, v18
	s_waitcnt vmcnt(0)
	v_mad_u64_u32 v[10:11], s[26:27], v8, 24, v[20:21]
	v_and_b32_e32 v16, v17, v19
	v_mov_b32_e32 v8, v11
	v_mad_u64_u32 v[16:17], s[26:27], v16, 24, v[8:9]
	v_mov_b32_e32 v11, v16
	global_load_dwordx2 v[16:17], v[10:11], off glc
	s_waitcnt vmcnt(0)
	global_atomic_cmpswap_x2 v[10:11], v9, v[16:19], s[20:21] offset:24 glc
	s_waitcnt vmcnt(0)
	buffer_wbinvl1_vol
	v_cmp_eq_u64_e32 vcc, v[10:11], v[18:19]
	s_or_b64 s[24:25], vcc, s[24:25]
	s_andn2_b64 exec, exec, s[24:25]
	s_cbranch_execnz .LBB0_313
; %bb.314:                              ;   in Loop: Header=BB0_39 Depth=1
	s_or_b64 exec, exec, s[24:25]
.LBB0_315:                              ;   in Loop: Header=BB0_39 Depth=1
	s_or_b64 exec, exec, s[22:23]
.LBB0_316:                              ;   in Loop: Header=BB0_39 Depth=1
	s_or_b64 exec, exec, s[14:15]
	global_load_dwordx2 v[16:17], v9, s[20:21] offset:40
	global_load_dwordx4 v[18:21], v9, s[20:21]
	v_readfirstlane_b32 s23, v11
	v_readfirstlane_b32 s22, v10
	s_mov_b64 s[14:15], exec
	s_waitcnt vmcnt(1)
	v_readfirstlane_b32 s24, v16
	v_readfirstlane_b32 s25, v17
	s_and_b64 s[24:25], s[24:25], s[22:23]
	s_mul_i32 s13, s25, 24
	s_mul_hi_u32 s26, s24, 24
	s_mul_i32 s27, s24, 24
	s_add_i32 s13, s26, s13
	v_mov_b32_e32 v8, s13
	s_waitcnt vmcnt(0)
	v_add_co_u32_e32 v22, vcc, s27, v18
	v_addc_co_u32_e32 v23, vcc, v19, v8, vcc
	s_and_saveexec_b64 s[26:27], s[6:7]
	s_cbranch_execz .LBB0_318
; %bb.317:                              ;   in Loop: Header=BB0_39 Depth=1
	v_mov_b32_e32 v10, s14
	v_mov_b32_e32 v11, s15
	global_store_dwordx4 v[22:23], v[10:13], off offset:8
.LBB0_318:                              ;   in Loop: Header=BB0_39 Depth=1
	s_or_b64 exec, exec, s[26:27]
	s_lshl_b64 s[14:15], s[24:25], 12
	v_mov_b32_e32 v8, s15
	v_add_co_u32_e32 v10, vcc, s14, v20
	v_addc_co_u32_e32 v8, vcc, v21, v8, vcc
	v_and_or_b32 v14, v14, s44, 34
	v_mov_b32_e32 v16, v9
	v_mov_b32_e32 v17, v9
	v_readfirstlane_b32 s24, v10
	v_readfirstlane_b32 s25, v8
	s_mov_b32 s15, s12
	s_mov_b32 s13, s12
	s_mov_b32 s14, s12
	s_nop 1
	global_store_dwordx4 v50, v[14:17], s[24:25]
	s_nop 0
	v_mov_b32_e32 v17, s15
	v_mov_b32_e32 v16, s14
	;; [unrolled: 1-line block ×4, first 2 shown]
	global_store_dwordx4 v50, v[14:17], s[24:25] offset:16
	global_store_dwordx4 v50, v[14:17], s[24:25] offset:32
	global_store_dwordx4 v50, v[14:17], s[24:25] offset:48
	s_and_saveexec_b64 s[14:15], s[6:7]
	s_cbranch_execz .LBB0_326
; %bb.319:                              ;   in Loop: Header=BB0_39 Depth=1
	global_load_dwordx2 v[26:27], v9, s[20:21] offset:32 glc
	global_load_dwordx2 v[10:11], v9, s[20:21] offset:40
	v_mov_b32_e32 v24, s22
	v_mov_b32_e32 v25, s23
	s_waitcnt vmcnt(0)
	v_readfirstlane_b32 s24, v10
	v_readfirstlane_b32 s25, v11
	s_and_b64 s[24:25], s[24:25], s[22:23]
	s_mul_i32 s13, s25, 24
	s_mul_hi_u32 s25, s24, 24
	s_mul_i32 s24, s24, 24
	s_add_i32 s13, s25, s13
	v_mov_b32_e32 v8, s13
	v_add_co_u32_e32 v10, vcc, s24, v18
	v_addc_co_u32_e32 v11, vcc, v19, v8, vcc
	global_store_dwordx2 v[10:11], v[26:27], off
	s_waitcnt vmcnt(0)
	global_atomic_cmpswap_x2 v[16:17], v9, v[24:27], s[20:21] offset:32 glc
	s_waitcnt vmcnt(0)
	v_cmp_ne_u64_e32 vcc, v[16:17], v[26:27]
	s_and_saveexec_b64 s[24:25], vcc
	s_cbranch_execz .LBB0_322
; %bb.320:                              ;   in Loop: Header=BB0_39 Depth=1
	s_mov_b64 s[26:27], 0
.LBB0_321:                              ;   Parent Loop BB0_39 Depth=1
                                        ; =>  This Inner Loop Header: Depth=2
	s_sleep 1
	global_store_dwordx2 v[10:11], v[16:17], off
	v_mov_b32_e32 v14, s22
	v_mov_b32_e32 v15, s23
	s_waitcnt vmcnt(0)
	global_atomic_cmpswap_x2 v[14:15], v9, v[14:17], s[20:21] offset:32 glc
	s_waitcnt vmcnt(0)
	v_cmp_eq_u64_e32 vcc, v[14:15], v[16:17]
	v_mov_b32_e32 v17, v15
	s_or_b64 s[26:27], vcc, s[26:27]
	v_mov_b32_e32 v16, v14
	s_andn2_b64 exec, exec, s[26:27]
	s_cbranch_execnz .LBB0_321
.LBB0_322:                              ;   in Loop: Header=BB0_39 Depth=1
	s_or_b64 exec, exec, s[24:25]
	global_load_dwordx2 v[10:11], v9, s[20:21] offset:16
	s_mov_b64 s[26:27], exec
	v_mbcnt_lo_u32_b32 v8, s26, 0
	v_mbcnt_hi_u32_b32 v8, s27, v8
	v_cmp_eq_u32_e32 vcc, 0, v8
	s_and_saveexec_b64 s[24:25], vcc
	s_cbranch_execz .LBB0_324
; %bb.323:                              ;   in Loop: Header=BB0_39 Depth=1
	s_bcnt1_i32_b64 s13, s[26:27]
	v_mov_b32_e32 v8, s13
	s_waitcnt vmcnt(0)
	global_atomic_add_x2 v[10:11], v[8:9], off offset:8
.LBB0_324:                              ;   in Loop: Header=BB0_39 Depth=1
	s_or_b64 exec, exec, s[24:25]
	s_waitcnt vmcnt(0)
	global_load_dwordx2 v[14:15], v[10:11], off offset:16
	s_waitcnt vmcnt(0)
	v_cmp_eq_u64_e32 vcc, 0, v[14:15]
	s_cbranch_vccnz .LBB0_326
; %bb.325:                              ;   in Loop: Header=BB0_39 Depth=1
	global_load_dword v8, v[10:11], off offset:24
	s_waitcnt vmcnt(0)
	v_readfirstlane_b32 s13, v8
	s_and_b32 m0, s13, 0xffffff
	global_store_dwordx2 v[14:15], v[8:9], off
	s_sendmsg sendmsg(MSG_INTERRUPT)
.LBB0_326:                              ;   in Loop: Header=BB0_39 Depth=1
	s_or_b64 exec, exec, s[14:15]
	s_branch .LBB0_330
.LBB0_327:                              ;   in Loop: Header=BB0_330 Depth=2
	s_or_b64 exec, exec, s[14:15]
	v_readfirstlane_b32 s13, v8
	s_cmp_eq_u32 s13, 0
	s_cbranch_scc1 .LBB0_329
; %bb.328:                              ;   in Loop: Header=BB0_330 Depth=2
	s_sleep 1
	s_cbranch_execnz .LBB0_330
	s_branch .LBB0_332
.LBB0_329:                              ;   in Loop: Header=BB0_39 Depth=1
	s_branch .LBB0_332
.LBB0_330:                              ;   Parent Loop BB0_39 Depth=1
                                        ; =>  This Inner Loop Header: Depth=2
	v_mov_b32_e32 v8, 1
	s_and_saveexec_b64 s[14:15], s[6:7]
	s_cbranch_execz .LBB0_327
; %bb.331:                              ;   in Loop: Header=BB0_330 Depth=2
	global_load_dword v8, v[22:23], off offset:20 glc
	s_waitcnt vmcnt(0)
	buffer_wbinvl1_vol
	v_and_b32_e32 v8, 1, v8
	s_branch .LBB0_327
.LBB0_332:                              ;   in Loop: Header=BB0_39 Depth=1
	s_and_saveexec_b64 s[14:15], s[6:7]
	s_cbranch_execz .LBB0_336
; %bb.333:                              ;   in Loop: Header=BB0_39 Depth=1
	global_load_dwordx2 v[10:11], v9, s[20:21] offset:40
	global_load_dwordx2 v[18:19], v9, s[20:21] offset:24 glc
	global_load_dwordx2 v[14:15], v9, s[20:21]
	s_waitcnt vmcnt(2)
	v_readfirstlane_b32 s24, v10
	v_readfirstlane_b32 s25, v11
	s_add_u32 s13, s24, 1
	s_addc_u32 s26, s25, 0
	s_add_u32 s6, s13, s22
	s_addc_u32 s7, s26, s23
	s_cmp_eq_u64 s[6:7], 0
	s_cselect_b32 s7, s26, s7
	s_cselect_b32 s6, s13, s6
	s_and_b64 s[22:23], s[6:7], s[24:25]
	s_mul_i32 s13, s23, 24
	s_mul_hi_u32 s23, s22, 24
	s_mul_i32 s22, s22, 24
	s_add_i32 s13, s23, s13
	v_mov_b32_e32 v8, s13
	s_waitcnt vmcnt(0)
	v_add_co_u32_e32 v10, vcc, s22, v14
	v_addc_co_u32_e32 v11, vcc, v15, v8, vcc
	v_mov_b32_e32 v16, s6
	global_store_dwordx2 v[10:11], v[18:19], off
	v_mov_b32_e32 v17, s7
	s_waitcnt vmcnt(0)
	global_atomic_cmpswap_x2 v[16:17], v9, v[16:19], s[20:21] offset:24 glc
	s_waitcnt vmcnt(0)
	v_cmp_ne_u64_e32 vcc, v[16:17], v[18:19]
	s_and_b64 exec, exec, vcc
	s_cbranch_execz .LBB0_336
; %bb.334:                              ;   in Loop: Header=BB0_39 Depth=1
	s_mov_b64 s[22:23], 0
.LBB0_335:                              ;   Parent Loop BB0_39 Depth=1
                                        ; =>  This Inner Loop Header: Depth=2
	s_sleep 1
	global_store_dwordx2 v[10:11], v[16:17], off
	v_mov_b32_e32 v14, s6
	v_mov_b32_e32 v15, s7
	s_waitcnt vmcnt(0)
	global_atomic_cmpswap_x2 v[14:15], v9, v[14:17], s[20:21] offset:24 glc
	s_waitcnt vmcnt(0)
	v_cmp_eq_u64_e32 vcc, v[14:15], v[16:17]
	v_mov_b32_e32 v17, v15
	s_or_b64 s[22:23], vcc, s[22:23]
	v_mov_b32_e32 v16, v14
	s_andn2_b64 exec, exec, s[22:23]
	s_cbranch_execnz .LBB0_335
.LBB0_336:                              ;   in Loop: Header=BB0_39 Depth=1
	s_or_b64 exec, exec, s[14:15]
.LBB0_337:                              ;   in Loop: Header=BB0_39 Depth=1
	v_readfirstlane_b32 s6, v38
	v_mov_b32_e32 v10, 0
	v_mov_b32_e32 v11, 0
	v_cmp_eq_u32_e64 s[6:7], s6, v38
	s_and_saveexec_b64 s[14:15], s[6:7]
	s_cbranch_execz .LBB0_343
; %bb.338:                              ;   in Loop: Header=BB0_39 Depth=1
	global_load_dwordx2 v[16:17], v9, s[20:21] offset:24 glc
	s_waitcnt vmcnt(0)
	buffer_wbinvl1_vol
	global_load_dwordx2 v[10:11], v9, s[20:21] offset:40
	global_load_dwordx2 v[14:15], v9, s[20:21]
	s_waitcnt vmcnt(1)
	v_and_b32_e32 v8, v10, v16
	v_and_b32_e32 v10, v11, v17
	v_mul_lo_u32 v10, v10, 24
	v_mul_hi_u32 v11, v8, 24
	v_mul_lo_u32 v8, v8, 24
	v_add_u32_e32 v11, v11, v10
	s_waitcnt vmcnt(0)
	v_add_co_u32_e32 v10, vcc, v14, v8
	v_addc_co_u32_e32 v11, vcc, v15, v11, vcc
	global_load_dwordx2 v[14:15], v[10:11], off glc
	s_waitcnt vmcnt(0)
	global_atomic_cmpswap_x2 v[10:11], v9, v[14:17], s[20:21] offset:24 glc
	s_waitcnt vmcnt(0)
	buffer_wbinvl1_vol
	v_cmp_ne_u64_e32 vcc, v[10:11], v[16:17]
	s_and_saveexec_b64 s[22:23], vcc
	s_cbranch_execz .LBB0_342
; %bb.339:                              ;   in Loop: Header=BB0_39 Depth=1
	s_mov_b64 s[24:25], 0
.LBB0_340:                              ;   Parent Loop BB0_39 Depth=1
                                        ; =>  This Inner Loop Header: Depth=2
	s_sleep 1
	global_load_dwordx2 v[14:15], v9, s[20:21] offset:40
	global_load_dwordx2 v[18:19], v9, s[20:21]
	v_mov_b32_e32 v17, v11
	v_mov_b32_e32 v16, v10
	s_waitcnt vmcnt(1)
	v_and_b32_e32 v8, v14, v16
	s_waitcnt vmcnt(0)
	v_mad_u64_u32 v[10:11], s[26:27], v8, 24, v[18:19]
	v_and_b32_e32 v14, v15, v17
	v_mov_b32_e32 v8, v11
	v_mad_u64_u32 v[14:15], s[26:27], v14, 24, v[8:9]
	v_mov_b32_e32 v11, v14
	global_load_dwordx2 v[14:15], v[10:11], off glc
	s_waitcnt vmcnt(0)
	global_atomic_cmpswap_x2 v[10:11], v9, v[14:17], s[20:21] offset:24 glc
	s_waitcnt vmcnt(0)
	buffer_wbinvl1_vol
	v_cmp_eq_u64_e32 vcc, v[10:11], v[16:17]
	s_or_b64 s[24:25], vcc, s[24:25]
	s_andn2_b64 exec, exec, s[24:25]
	s_cbranch_execnz .LBB0_340
; %bb.341:                              ;   in Loop: Header=BB0_39 Depth=1
	s_or_b64 exec, exec, s[24:25]
.LBB0_342:                              ;   in Loop: Header=BB0_39 Depth=1
	s_or_b64 exec, exec, s[22:23]
.LBB0_343:                              ;   in Loop: Header=BB0_39 Depth=1
	s_or_b64 exec, exec, s[14:15]
	global_load_dwordx2 v[18:19], v9, s[20:21] offset:40
	global_load_dwordx4 v[14:17], v9, s[20:21]
	v_readfirstlane_b32 s23, v11
	v_readfirstlane_b32 s22, v10
	s_mov_b64 s[14:15], exec
	s_waitcnt vmcnt(1)
	v_readfirstlane_b32 s24, v18
	v_readfirstlane_b32 s25, v19
	s_and_b64 s[24:25], s[24:25], s[22:23]
	s_mul_i32 s13, s25, 24
	s_mul_hi_u32 s26, s24, 24
	s_mul_i32 s27, s24, 24
	s_add_i32 s13, s26, s13
	v_mov_b32_e32 v8, s13
	s_waitcnt vmcnt(0)
	v_add_co_u32_e32 v18, vcc, s27, v14
	v_addc_co_u32_e32 v19, vcc, v15, v8, vcc
	s_and_saveexec_b64 s[26:27], s[6:7]
	s_cbranch_execz .LBB0_345
; %bb.344:                              ;   in Loop: Header=BB0_39 Depth=1
	v_mov_b32_e32 v10, s14
	v_mov_b32_e32 v11, s15
	global_store_dwordx4 v[18:19], v[10:13], off offset:8
.LBB0_345:                              ;   in Loop: Header=BB0_39 Depth=1
	s_or_b64 exec, exec, s[26:27]
	s_lshl_b64 s[14:15], s[24:25], 12
	v_mov_b32_e32 v8, s15
	v_add_co_u32_e32 v20, vcc, s14, v16
	s_mov_b32 s15, s12
	v_addc_co_u32_e32 v21, vcc, v17, v8, vcc
	s_mov_b32 s13, s12
	s_mov_b32 s14, s12
	v_mov_b32_e32 v25, s15
	v_mov_b32_e32 v8, v9
	;; [unrolled: 1-line block ×3, first 2 shown]
	v_readfirstlane_b32 s24, v20
	v_readfirstlane_b32 s25, v21
	v_mov_b32_e32 v24, s14
	v_mov_b32_e32 v23, s13
	;; [unrolled: 1-line block ×3, first 2 shown]
	s_nop 1
	global_store_dwordx4 v50, v[7:10], s[24:25]
	global_store_dwordx4 v50, v[22:25], s[24:25] offset:16
	global_store_dwordx4 v50, v[22:25], s[24:25] offset:32
	;; [unrolled: 1-line block ×3, first 2 shown]
	s_and_saveexec_b64 s[14:15], s[6:7]
	s_cbranch_execz .LBB0_353
; %bb.346:                              ;   in Loop: Header=BB0_39 Depth=1
	global_load_dwordx2 v[24:25], v9, s[20:21] offset:32 glc
	global_load_dwordx2 v[10:11], v9, s[20:21] offset:40
	v_mov_b32_e32 v22, s22
	v_mov_b32_e32 v23, s23
	s_waitcnt vmcnt(0)
	v_readfirstlane_b32 s24, v10
	v_readfirstlane_b32 s25, v11
	s_and_b64 s[24:25], s[24:25], s[22:23]
	s_mul_i32 s13, s25, 24
	s_mul_hi_u32 s25, s24, 24
	s_mul_i32 s24, s24, 24
	s_add_i32 s13, s25, s13
	v_mov_b32_e32 v8, s13
	v_add_co_u32_e32 v10, vcc, s24, v14
	v_addc_co_u32_e32 v11, vcc, v15, v8, vcc
	global_store_dwordx2 v[10:11], v[24:25], off
	s_waitcnt vmcnt(0)
	global_atomic_cmpswap_x2 v[16:17], v9, v[22:25], s[20:21] offset:32 glc
	s_waitcnt vmcnt(0)
	v_cmp_ne_u64_e32 vcc, v[16:17], v[24:25]
	s_and_saveexec_b64 s[24:25], vcc
	s_cbranch_execz .LBB0_349
; %bb.347:                              ;   in Loop: Header=BB0_39 Depth=1
	s_mov_b64 s[26:27], 0
.LBB0_348:                              ;   Parent Loop BB0_39 Depth=1
                                        ; =>  This Inner Loop Header: Depth=2
	s_sleep 1
	global_store_dwordx2 v[10:11], v[16:17], off
	v_mov_b32_e32 v14, s22
	v_mov_b32_e32 v15, s23
	s_waitcnt vmcnt(0)
	global_atomic_cmpswap_x2 v[14:15], v9, v[14:17], s[20:21] offset:32 glc
	s_waitcnt vmcnt(0)
	v_cmp_eq_u64_e32 vcc, v[14:15], v[16:17]
	v_mov_b32_e32 v17, v15
	s_or_b64 s[26:27], vcc, s[26:27]
	v_mov_b32_e32 v16, v14
	s_andn2_b64 exec, exec, s[26:27]
	s_cbranch_execnz .LBB0_348
.LBB0_349:                              ;   in Loop: Header=BB0_39 Depth=1
	s_or_b64 exec, exec, s[24:25]
	global_load_dwordx2 v[10:11], v9, s[20:21] offset:16
	s_mov_b64 s[26:27], exec
	v_mbcnt_lo_u32_b32 v8, s26, 0
	v_mbcnt_hi_u32_b32 v8, s27, v8
	v_cmp_eq_u32_e32 vcc, 0, v8
	s_and_saveexec_b64 s[24:25], vcc
	s_cbranch_execz .LBB0_351
; %bb.350:                              ;   in Loop: Header=BB0_39 Depth=1
	s_bcnt1_i32_b64 s13, s[26:27]
	v_mov_b32_e32 v8, s13
	s_waitcnt vmcnt(0)
	global_atomic_add_x2 v[10:11], v[8:9], off offset:8
.LBB0_351:                              ;   in Loop: Header=BB0_39 Depth=1
	s_or_b64 exec, exec, s[24:25]
	s_waitcnt vmcnt(0)
	global_load_dwordx2 v[14:15], v[10:11], off offset:16
	s_waitcnt vmcnt(0)
	v_cmp_eq_u64_e32 vcc, 0, v[14:15]
	s_cbranch_vccnz .LBB0_353
; %bb.352:                              ;   in Loop: Header=BB0_39 Depth=1
	global_load_dword v8, v[10:11], off offset:24
	s_waitcnt vmcnt(0)
	v_readfirstlane_b32 s13, v8
	s_and_b32 m0, s13, 0xffffff
	global_store_dwordx2 v[14:15], v[8:9], off
	s_sendmsg sendmsg(MSG_INTERRUPT)
.LBB0_353:                              ;   in Loop: Header=BB0_39 Depth=1
	s_or_b64 exec, exec, s[14:15]
	v_add_co_u32_e32 v10, vcc, v20, v50
	v_addc_co_u32_e32 v11, vcc, 0, v21, vcc
	s_branch .LBB0_357
.LBB0_354:                              ;   in Loop: Header=BB0_357 Depth=2
	s_or_b64 exec, exec, s[14:15]
	v_readfirstlane_b32 s13, v8
	s_cmp_eq_u32 s13, 0
	s_cbranch_scc1 .LBB0_356
; %bb.355:                              ;   in Loop: Header=BB0_357 Depth=2
	s_sleep 1
	s_cbranch_execnz .LBB0_357
	s_branch .LBB0_359
.LBB0_356:                              ;   in Loop: Header=BB0_39 Depth=1
	s_branch .LBB0_359
.LBB0_357:                              ;   Parent Loop BB0_39 Depth=1
                                        ; =>  This Inner Loop Header: Depth=2
	v_mov_b32_e32 v8, 1
	s_and_saveexec_b64 s[14:15], s[6:7]
	s_cbranch_execz .LBB0_354
; %bb.358:                              ;   in Loop: Header=BB0_357 Depth=2
	global_load_dword v8, v[18:19], off offset:20 glc
	s_waitcnt vmcnt(0)
	buffer_wbinvl1_vol
	v_and_b32_e32 v8, 1, v8
	s_branch .LBB0_354
.LBB0_359:                              ;   in Loop: Header=BB0_39 Depth=1
	global_load_dwordx2 v[14:15], v[10:11], off
	s_and_saveexec_b64 s[14:15], s[6:7]
	s_cbranch_execz .LBB0_363
; %bb.360:                              ;   in Loop: Header=BB0_39 Depth=1
	global_load_dwordx2 v[10:11], v9, s[20:21] offset:40
	global_load_dwordx2 v[20:21], v9, s[20:21] offset:24 glc
	global_load_dwordx2 v[16:17], v9, s[20:21]
	s_waitcnt vmcnt(2)
	v_readfirstlane_b32 s24, v10
	v_readfirstlane_b32 s25, v11
	s_add_u32 s13, s24, 1
	s_addc_u32 s26, s25, 0
	s_add_u32 s6, s13, s22
	s_addc_u32 s7, s26, s23
	s_cmp_eq_u64 s[6:7], 0
	s_cselect_b32 s7, s26, s7
	s_cselect_b32 s6, s13, s6
	s_and_b64 s[22:23], s[6:7], s[24:25]
	s_mul_i32 s13, s23, 24
	s_mul_hi_u32 s23, s22, 24
	s_mul_i32 s22, s22, 24
	s_add_i32 s13, s23, s13
	v_mov_b32_e32 v8, s13
	s_waitcnt vmcnt(0)
	v_add_co_u32_e32 v10, vcc, s22, v16
	v_addc_co_u32_e32 v11, vcc, v17, v8, vcc
	v_mov_b32_e32 v18, s6
	global_store_dwordx2 v[10:11], v[20:21], off
	v_mov_b32_e32 v19, s7
	s_waitcnt vmcnt(0)
	global_atomic_cmpswap_x2 v[18:19], v9, v[18:21], s[20:21] offset:24 glc
	s_waitcnt vmcnt(0)
	v_cmp_ne_u64_e32 vcc, v[18:19], v[20:21]
	s_and_b64 exec, exec, vcc
	s_cbranch_execz .LBB0_363
; %bb.361:                              ;   in Loop: Header=BB0_39 Depth=1
	s_mov_b64 s[22:23], 0
.LBB0_362:                              ;   Parent Loop BB0_39 Depth=1
                                        ; =>  This Inner Loop Header: Depth=2
	s_sleep 1
	global_store_dwordx2 v[10:11], v[18:19], off
	v_mov_b32_e32 v16, s6
	v_mov_b32_e32 v17, s7
	s_waitcnt vmcnt(0)
	global_atomic_cmpswap_x2 v[16:17], v9, v[16:19], s[20:21] offset:24 glc
	s_waitcnt vmcnt(0)
	v_cmp_eq_u64_e32 vcc, v[16:17], v[18:19]
	v_mov_b32_e32 v19, v17
	s_or_b64 s[22:23], vcc, s[22:23]
	v_mov_b32_e32 v18, v16
	s_andn2_b64 exec, exec, s[22:23]
	s_cbranch_execnz .LBB0_362
.LBB0_363:                              ;   in Loop: Header=BB0_39 Depth=1
	s_or_b64 exec, exec, s[14:15]
	s_and_b64 vcc, exec, s[10:11]
	s_cbranch_vccz .LBB0_449
; %bb.364:                              ;   in Loop: Header=BB0_39 Depth=1
	s_waitcnt vmcnt(0)
	v_and_b32_e32 v16, -3, v14
	v_mov_b32_e32 v17, v15
	s_mov_b64 s[22:23], 39
	s_getpc_b64 s[14:15]
	s_add_u32 s14, s14, .str.2@rel32@lo+4
	s_addc_u32 s15, s15, .str.2@rel32@hi+12
	s_branch .LBB0_366
.LBB0_365:                              ;   in Loop: Header=BB0_366 Depth=2
	s_or_b64 exec, exec, s[28:29]
	s_sub_u32 s22, s22, s24
	s_subb_u32 s23, s23, s25
	s_add_u32 s14, s14, s24
	s_addc_u32 s15, s15, s25
	s_cmp_eq_u64 s[22:23], 0
	s_cbranch_scc1 .LBB0_448
.LBB0_366:                              ;   Parent Loop BB0_39 Depth=1
                                        ; =>  This Loop Header: Depth=2
                                        ;       Child Loop BB0_369 Depth 3
                                        ;       Child Loop BB0_377 Depth 3
	;; [unrolled: 1-line block ×11, first 2 shown]
	v_cmp_lt_u64_e64 s[6:7], s[22:23], 56
	v_cmp_gt_u64_e64 s[26:27], s[22:23], 7
	s_and_b64 s[6:7], s[6:7], exec
	s_cselect_b32 s25, s23, 0
	s_cselect_b32 s24, s22, 56
	s_add_u32 s6, s14, 8
	s_addc_u32 s7, s15, 0
	s_and_b64 vcc, exec, s[26:27]
	s_cbranch_vccnz .LBB0_370
; %bb.367:                              ;   in Loop: Header=BB0_366 Depth=2
	s_cmp_eq_u64 s[22:23], 0
	s_cbranch_scc1 .LBB0_371
; %bb.368:                              ;   in Loop: Header=BB0_366 Depth=2
	s_waitcnt vmcnt(0)
	v_mov_b32_e32 v18, 0
	s_lshl_b64 s[6:7], s[24:25], 3
	s_mov_b64 s[26:27], 0
	v_mov_b32_e32 v19, 0
	s_mov_b64 s[28:29], s[14:15]
.LBB0_369:                              ;   Parent Loop BB0_39 Depth=1
                                        ;     Parent Loop BB0_366 Depth=2
                                        ; =>    This Inner Loop Header: Depth=3
	global_load_ubyte v8, v9, s[28:29]
	s_waitcnt vmcnt(0)
	v_and_b32_e32 v8, 0xffff, v8
	v_lshlrev_b64 v[10:11], s26, v[8:9]
	s_add_u32 s26, s26, 8
	s_addc_u32 s27, s27, 0
	s_add_u32 s28, s28, 1
	s_addc_u32 s29, s29, 0
	v_or_b32_e32 v18, v10, v18
	s_cmp_lg_u32 s6, s26
	v_or_b32_e32 v19, v11, v19
	s_cbranch_scc1 .LBB0_369
	s_branch .LBB0_372
.LBB0_370:                              ;   in Loop: Header=BB0_366 Depth=2
	s_mov_b32 s13, 0
	s_branch .LBB0_373
.LBB0_371:                              ;   in Loop: Header=BB0_366 Depth=2
	s_waitcnt vmcnt(0)
	v_mov_b32_e32 v18, 0
	v_mov_b32_e32 v19, 0
.LBB0_372:                              ;   in Loop: Header=BB0_366 Depth=2
	s_mov_b64 s[6:7], s[14:15]
	s_mov_b32 s13, 0
	s_cbranch_execnz .LBB0_374
.LBB0_373:                              ;   in Loop: Header=BB0_366 Depth=2
	global_load_dwordx2 v[18:19], v9, s[14:15]
	s_add_i32 s13, s24, -8
.LBB0_374:                              ;   in Loop: Header=BB0_366 Depth=2
	s_add_u32 s26, s6, 8
	s_addc_u32 s27, s7, 0
	s_cmp_gt_u32 s13, 7
	s_cbranch_scc1 .LBB0_378
; %bb.375:                              ;   in Loop: Header=BB0_366 Depth=2
	s_cmp_eq_u32 s13, 0
	s_cbranch_scc1 .LBB0_379
; %bb.376:                              ;   in Loop: Header=BB0_366 Depth=2
	v_mov_b32_e32 v20, 0
	s_mov_b64 s[26:27], 0
	v_mov_b32_e32 v21, 0
	s_mov_b64 s[28:29], 0
.LBB0_377:                              ;   Parent Loop BB0_39 Depth=1
                                        ;     Parent Loop BB0_366 Depth=2
                                        ; =>    This Inner Loop Header: Depth=3
	s_add_u32 s40, s6, s28
	s_addc_u32 s41, s7, s29
	global_load_ubyte v8, v9, s[40:41]
	s_add_u32 s28, s28, 1
	s_addc_u32 s29, s29, 0
	s_waitcnt vmcnt(0)
	v_and_b32_e32 v8, 0xffff, v8
	v_lshlrev_b64 v[10:11], s26, v[8:9]
	s_add_u32 s26, s26, 8
	s_addc_u32 s27, s27, 0
	v_or_b32_e32 v20, v10, v20
	s_cmp_lg_u32 s13, s28
	v_or_b32_e32 v21, v11, v21
	s_cbranch_scc1 .LBB0_377
	s_branch .LBB0_380
.LBB0_378:                              ;   in Loop: Header=BB0_366 Depth=2
                                        ; implicit-def: $vgpr20_vgpr21
	s_mov_b32 s40, 0
	s_branch .LBB0_381
.LBB0_379:                              ;   in Loop: Header=BB0_366 Depth=2
	v_mov_b32_e32 v20, 0
	v_mov_b32_e32 v21, 0
.LBB0_380:                              ;   in Loop: Header=BB0_366 Depth=2
	s_mov_b64 s[26:27], s[6:7]
	s_mov_b32 s40, 0
	s_cbranch_execnz .LBB0_382
.LBB0_381:                              ;   in Loop: Header=BB0_366 Depth=2
	global_load_dwordx2 v[20:21], v9, s[6:7]
	s_add_i32 s40, s13, -8
.LBB0_382:                              ;   in Loop: Header=BB0_366 Depth=2
	s_add_u32 s6, s26, 8
	s_addc_u32 s7, s27, 0
	s_cmp_gt_u32 s40, 7
	s_cbranch_scc1 .LBB0_386
; %bb.383:                              ;   in Loop: Header=BB0_366 Depth=2
	s_cmp_eq_u32 s40, 0
	s_cbranch_scc1 .LBB0_387
; %bb.384:                              ;   in Loop: Header=BB0_366 Depth=2
	v_mov_b32_e32 v22, 0
	s_mov_b64 s[6:7], 0
	v_mov_b32_e32 v23, 0
	s_mov_b64 s[28:29], 0
.LBB0_385:                              ;   Parent Loop BB0_39 Depth=1
                                        ;     Parent Loop BB0_366 Depth=2
                                        ; =>    This Inner Loop Header: Depth=3
	s_add_u32 s42, s26, s28
	s_addc_u32 s43, s27, s29
	global_load_ubyte v8, v9, s[42:43]
	s_add_u32 s28, s28, 1
	s_addc_u32 s29, s29, 0
	s_waitcnt vmcnt(0)
	v_and_b32_e32 v8, 0xffff, v8
	v_lshlrev_b64 v[10:11], s6, v[8:9]
	s_add_u32 s6, s6, 8
	s_addc_u32 s7, s7, 0
	v_or_b32_e32 v22, v10, v22
	s_cmp_lg_u32 s40, s28
	v_or_b32_e32 v23, v11, v23
	s_cbranch_scc1 .LBB0_385
	s_branch .LBB0_388
.LBB0_386:                              ;   in Loop: Header=BB0_366 Depth=2
	s_mov_b32 s13, 0
	s_branch .LBB0_389
.LBB0_387:                              ;   in Loop: Header=BB0_366 Depth=2
	v_mov_b32_e32 v22, 0
	v_mov_b32_e32 v23, 0
.LBB0_388:                              ;   in Loop: Header=BB0_366 Depth=2
	s_mov_b64 s[6:7], s[26:27]
	s_mov_b32 s13, 0
	s_cbranch_execnz .LBB0_390
.LBB0_389:                              ;   in Loop: Header=BB0_366 Depth=2
	global_load_dwordx2 v[22:23], v9, s[26:27]
	s_add_i32 s13, s40, -8
.LBB0_390:                              ;   in Loop: Header=BB0_366 Depth=2
	s_add_u32 s26, s6, 8
	s_addc_u32 s27, s7, 0
	s_cmp_gt_u32 s13, 7
	s_cbranch_scc1 .LBB0_394
; %bb.391:                              ;   in Loop: Header=BB0_366 Depth=2
	s_cmp_eq_u32 s13, 0
	s_cbranch_scc1 .LBB0_395
; %bb.392:                              ;   in Loop: Header=BB0_366 Depth=2
	v_mov_b32_e32 v24, 0
	s_mov_b64 s[26:27], 0
	v_mov_b32_e32 v25, 0
	s_mov_b64 s[28:29], 0
.LBB0_393:                              ;   Parent Loop BB0_39 Depth=1
                                        ;     Parent Loop BB0_366 Depth=2
                                        ; =>    This Inner Loop Header: Depth=3
	s_add_u32 s40, s6, s28
	s_addc_u32 s41, s7, s29
	global_load_ubyte v8, v9, s[40:41]
	s_add_u32 s28, s28, 1
	s_addc_u32 s29, s29, 0
	s_waitcnt vmcnt(0)
	v_and_b32_e32 v8, 0xffff, v8
	v_lshlrev_b64 v[10:11], s26, v[8:9]
	s_add_u32 s26, s26, 8
	s_addc_u32 s27, s27, 0
	v_or_b32_e32 v24, v10, v24
	s_cmp_lg_u32 s13, s28
	v_or_b32_e32 v25, v11, v25
	s_cbranch_scc1 .LBB0_393
	s_branch .LBB0_396
.LBB0_394:                              ;   in Loop: Header=BB0_366 Depth=2
                                        ; implicit-def: $vgpr24_vgpr25
	s_mov_b32 s40, 0
	s_branch .LBB0_397
.LBB0_395:                              ;   in Loop: Header=BB0_366 Depth=2
	v_mov_b32_e32 v24, 0
	v_mov_b32_e32 v25, 0
.LBB0_396:                              ;   in Loop: Header=BB0_366 Depth=2
	s_mov_b64 s[26:27], s[6:7]
	s_mov_b32 s40, 0
	s_cbranch_execnz .LBB0_398
.LBB0_397:                              ;   in Loop: Header=BB0_366 Depth=2
	global_load_dwordx2 v[24:25], v9, s[6:7]
	s_add_i32 s40, s13, -8
.LBB0_398:                              ;   in Loop: Header=BB0_366 Depth=2
	s_add_u32 s6, s26, 8
	s_addc_u32 s7, s27, 0
	s_cmp_gt_u32 s40, 7
	s_cbranch_scc1 .LBB0_402
; %bb.399:                              ;   in Loop: Header=BB0_366 Depth=2
	s_cmp_eq_u32 s40, 0
	s_cbranch_scc1 .LBB0_403
; %bb.400:                              ;   in Loop: Header=BB0_366 Depth=2
	v_mov_b32_e32 v26, 0
	s_mov_b64 s[6:7], 0
	v_mov_b32_e32 v27, 0
	s_mov_b64 s[28:29], 0
.LBB0_401:                              ;   Parent Loop BB0_39 Depth=1
                                        ;     Parent Loop BB0_366 Depth=2
                                        ; =>    This Inner Loop Header: Depth=3
	s_add_u32 s42, s26, s28
	s_addc_u32 s43, s27, s29
	global_load_ubyte v8, v9, s[42:43]
	s_add_u32 s28, s28, 1
	s_addc_u32 s29, s29, 0
	s_waitcnt vmcnt(0)
	v_and_b32_e32 v8, 0xffff, v8
	v_lshlrev_b64 v[10:11], s6, v[8:9]
	s_add_u32 s6, s6, 8
	s_addc_u32 s7, s7, 0
	v_or_b32_e32 v26, v10, v26
	s_cmp_lg_u32 s40, s28
	v_or_b32_e32 v27, v11, v27
	s_cbranch_scc1 .LBB0_401
	s_branch .LBB0_404
.LBB0_402:                              ;   in Loop: Header=BB0_366 Depth=2
	s_mov_b32 s13, 0
	s_branch .LBB0_405
.LBB0_403:                              ;   in Loop: Header=BB0_366 Depth=2
	v_mov_b32_e32 v26, 0
	v_mov_b32_e32 v27, 0
.LBB0_404:                              ;   in Loop: Header=BB0_366 Depth=2
	s_mov_b64 s[6:7], s[26:27]
	s_mov_b32 s13, 0
	s_cbranch_execnz .LBB0_406
.LBB0_405:                              ;   in Loop: Header=BB0_366 Depth=2
	global_load_dwordx2 v[26:27], v9, s[26:27]
	s_add_i32 s13, s40, -8
.LBB0_406:                              ;   in Loop: Header=BB0_366 Depth=2
	s_add_u32 s26, s6, 8
	s_addc_u32 s27, s7, 0
	s_cmp_gt_u32 s13, 7
	s_cbranch_scc1 .LBB0_410
; %bb.407:                              ;   in Loop: Header=BB0_366 Depth=2
	s_cmp_eq_u32 s13, 0
	s_cbranch_scc1 .LBB0_411
; %bb.408:                              ;   in Loop: Header=BB0_366 Depth=2
	v_mov_b32_e32 v28, 0
	s_mov_b64 s[26:27], 0
	v_mov_b32_e32 v29, 0
	s_mov_b64 s[28:29], 0
.LBB0_409:                              ;   Parent Loop BB0_39 Depth=1
                                        ;     Parent Loop BB0_366 Depth=2
                                        ; =>    This Inner Loop Header: Depth=3
	s_add_u32 s40, s6, s28
	s_addc_u32 s41, s7, s29
	global_load_ubyte v8, v9, s[40:41]
	s_add_u32 s28, s28, 1
	s_addc_u32 s29, s29, 0
	s_waitcnt vmcnt(0)
	v_and_b32_e32 v8, 0xffff, v8
	v_lshlrev_b64 v[10:11], s26, v[8:9]
	s_add_u32 s26, s26, 8
	s_addc_u32 s27, s27, 0
	v_or_b32_e32 v28, v10, v28
	s_cmp_lg_u32 s13, s28
	v_or_b32_e32 v29, v11, v29
	s_cbranch_scc1 .LBB0_409
	s_branch .LBB0_412
.LBB0_410:                              ;   in Loop: Header=BB0_366 Depth=2
                                        ; implicit-def: $vgpr28_vgpr29
	s_mov_b32 s40, 0
	s_branch .LBB0_413
.LBB0_411:                              ;   in Loop: Header=BB0_366 Depth=2
	v_mov_b32_e32 v28, 0
	v_mov_b32_e32 v29, 0
.LBB0_412:                              ;   in Loop: Header=BB0_366 Depth=2
	s_mov_b64 s[26:27], s[6:7]
	s_mov_b32 s40, 0
	s_cbranch_execnz .LBB0_414
.LBB0_413:                              ;   in Loop: Header=BB0_366 Depth=2
	global_load_dwordx2 v[28:29], v9, s[6:7]
	s_add_i32 s40, s13, -8
.LBB0_414:                              ;   in Loop: Header=BB0_366 Depth=2
	s_cmp_gt_u32 s40, 7
	s_cbranch_scc1 .LBB0_418
; %bb.415:                              ;   in Loop: Header=BB0_366 Depth=2
	s_cmp_eq_u32 s40, 0
	s_cbranch_scc1 .LBB0_419
; %bb.416:                              ;   in Loop: Header=BB0_366 Depth=2
	v_mov_b32_e32 v30, 0
	s_mov_b64 s[6:7], 0
	v_mov_b32_e32 v31, 0
	s_mov_b64 s[28:29], s[26:27]
.LBB0_417:                              ;   Parent Loop BB0_39 Depth=1
                                        ;     Parent Loop BB0_366 Depth=2
                                        ; =>    This Inner Loop Header: Depth=3
	global_load_ubyte v8, v9, s[28:29]
	s_add_i32 s40, s40, -1
	s_waitcnt vmcnt(0)
	v_and_b32_e32 v8, 0xffff, v8
	v_lshlrev_b64 v[10:11], s6, v[8:9]
	s_add_u32 s6, s6, 8
	s_addc_u32 s7, s7, 0
	s_add_u32 s28, s28, 1
	s_addc_u32 s29, s29, 0
	v_or_b32_e32 v30, v10, v30
	s_cmp_lg_u32 s40, 0
	v_or_b32_e32 v31, v11, v31
	s_cbranch_scc1 .LBB0_417
	s_branch .LBB0_420
.LBB0_418:                              ;   in Loop: Header=BB0_366 Depth=2
	s_branch .LBB0_421
.LBB0_419:                              ;   in Loop: Header=BB0_366 Depth=2
	v_mov_b32_e32 v30, 0
	v_mov_b32_e32 v31, 0
.LBB0_420:                              ;   in Loop: Header=BB0_366 Depth=2
	s_cbranch_execnz .LBB0_422
.LBB0_421:                              ;   in Loop: Header=BB0_366 Depth=2
	global_load_dwordx2 v[30:31], v9, s[26:27]
.LBB0_422:                              ;   in Loop: Header=BB0_366 Depth=2
	v_readfirstlane_b32 s6, v38
	v_mov_b32_e32 v10, 0
	v_mov_b32_e32 v11, 0
	v_cmp_eq_u32_e64 s[6:7], s6, v38
	s_and_saveexec_b64 s[26:27], s[6:7]
	s_cbranch_execz .LBB0_428
; %bb.423:                              ;   in Loop: Header=BB0_366 Depth=2
	global_load_dwordx2 v[34:35], v9, s[20:21] offset:24 glc
	s_waitcnt vmcnt(0)
	buffer_wbinvl1_vol
	global_load_dwordx2 v[10:11], v9, s[20:21] offset:40
	global_load_dwordx2 v[32:33], v9, s[20:21]
	s_waitcnt vmcnt(1)
	v_and_b32_e32 v8, v10, v34
	v_and_b32_e32 v10, v11, v35
	v_mul_lo_u32 v10, v10, 24
	v_mul_hi_u32 v11, v8, 24
	v_mul_lo_u32 v8, v8, 24
	v_add_u32_e32 v11, v11, v10
	s_waitcnt vmcnt(0)
	v_add_co_u32_e32 v10, vcc, v32, v8
	v_addc_co_u32_e32 v11, vcc, v33, v11, vcc
	global_load_dwordx2 v[32:33], v[10:11], off glc
	s_waitcnt vmcnt(0)
	global_atomic_cmpswap_x2 v[10:11], v9, v[32:35], s[20:21] offset:24 glc
	s_waitcnt vmcnt(0)
	buffer_wbinvl1_vol
	v_cmp_ne_u64_e32 vcc, v[10:11], v[34:35]
	s_and_saveexec_b64 s[28:29], vcc
	s_cbranch_execz .LBB0_427
; %bb.424:                              ;   in Loop: Header=BB0_366 Depth=2
	s_mov_b64 s[40:41], 0
.LBB0_425:                              ;   Parent Loop BB0_39 Depth=1
                                        ;     Parent Loop BB0_366 Depth=2
                                        ; =>    This Inner Loop Header: Depth=3
	s_sleep 1
	global_load_dwordx2 v[32:33], v9, s[20:21] offset:40
	global_load_dwordx2 v[36:37], v9, s[20:21]
	v_mov_b32_e32 v35, v11
	v_mov_b32_e32 v34, v10
	s_waitcnt vmcnt(1)
	v_and_b32_e32 v8, v32, v34
	s_waitcnt vmcnt(0)
	v_mad_u64_u32 v[10:11], s[42:43], v8, 24, v[36:37]
	v_and_b32_e32 v32, v33, v35
	v_mov_b32_e32 v8, v11
	v_mad_u64_u32 v[32:33], s[42:43], v32, 24, v[8:9]
	v_mov_b32_e32 v11, v32
	global_load_dwordx2 v[32:33], v[10:11], off glc
	s_waitcnt vmcnt(0)
	global_atomic_cmpswap_x2 v[10:11], v9, v[32:35], s[20:21] offset:24 glc
	s_waitcnt vmcnt(0)
	buffer_wbinvl1_vol
	v_cmp_eq_u64_e32 vcc, v[10:11], v[34:35]
	s_or_b64 s[40:41], vcc, s[40:41]
	s_andn2_b64 exec, exec, s[40:41]
	s_cbranch_execnz .LBB0_425
; %bb.426:                              ;   in Loop: Header=BB0_366 Depth=2
	s_or_b64 exec, exec, s[40:41]
.LBB0_427:                              ;   in Loop: Header=BB0_366 Depth=2
	s_or_b64 exec, exec, s[28:29]
.LBB0_428:                              ;   in Loop: Header=BB0_366 Depth=2
	s_or_b64 exec, exec, s[26:27]
	global_load_dwordx2 v[36:37], v9, s[20:21] offset:40
	global_load_dwordx4 v[32:35], v9, s[20:21]
	v_readfirstlane_b32 s27, v11
	v_readfirstlane_b32 s26, v10
	s_mov_b64 s[28:29], exec
	s_waitcnt vmcnt(1)
	v_readfirstlane_b32 s40, v36
	v_readfirstlane_b32 s41, v37
	s_and_b64 s[40:41], s[40:41], s[26:27]
	s_mul_i32 s13, s41, 24
	s_mul_hi_u32 s42, s40, 24
	s_mul_i32 s43, s40, 24
	s_add_i32 s13, s42, s13
	v_mov_b32_e32 v8, s13
	s_waitcnt vmcnt(0)
	v_add_co_u32_e32 v36, vcc, s43, v32
	v_addc_co_u32_e32 v37, vcc, v33, v8, vcc
	s_and_saveexec_b64 s[42:43], s[6:7]
	s_cbranch_execz .LBB0_430
; %bb.429:                              ;   in Loop: Header=BB0_366 Depth=2
	v_mov_b32_e32 v10, s28
	v_mov_b32_e32 v11, s29
	global_store_dwordx4 v[36:37], v[10:13], off offset:8
.LBB0_430:                              ;   in Loop: Header=BB0_366 Depth=2
	s_or_b64 exec, exec, s[42:43]
	s_lshl_b64 s[28:29], s[40:41], 12
	v_cmp_gt_u64_e64 s[40:41], s[22:23], 56
	v_mov_b32_e32 v8, s29
	v_add_co_u32_e32 v34, vcc, s28, v34
	s_and_b64 s[28:29], s[40:41], exec
	s_cselect_b32 s13, 0, 2
	s_lshl_b32 s28, s24, 2
	v_addc_co_u32_e32 v35, vcc, v35, v8, vcc
	s_add_i32 s28, s28, 28
	v_and_b32_e32 v8, 0xffffff1f, v16
	s_and_b32 s28, s28, 0x1e0
	v_or_b32_e32 v8, s13, v8
	v_or_b32_e32 v16, s28, v8
	v_readfirstlane_b32 s28, v34
	v_readfirstlane_b32 s29, v35
	s_nop 4
	global_store_dwordx4 v50, v[16:19], s[28:29]
	global_store_dwordx4 v50, v[20:23], s[28:29] offset:16
	global_store_dwordx4 v50, v[24:27], s[28:29] offset:32
	;; [unrolled: 1-line block ×3, first 2 shown]
	s_and_saveexec_b64 s[28:29], s[6:7]
	s_cbranch_execz .LBB0_438
; %bb.431:                              ;   in Loop: Header=BB0_366 Depth=2
	global_load_dwordx2 v[20:21], v9, s[20:21] offset:32 glc
	global_load_dwordx2 v[10:11], v9, s[20:21] offset:40
	v_mov_b32_e32 v18, s26
	v_mov_b32_e32 v19, s27
	s_waitcnt vmcnt(0)
	v_readfirstlane_b32 s40, v10
	v_readfirstlane_b32 s41, v11
	s_and_b64 s[40:41], s[40:41], s[26:27]
	s_mul_i32 s13, s41, 24
	s_mul_hi_u32 s41, s40, 24
	s_mul_i32 s40, s40, 24
	s_add_i32 s13, s41, s13
	v_mov_b32_e32 v8, s13
	v_add_co_u32_e32 v10, vcc, s40, v32
	v_addc_co_u32_e32 v11, vcc, v33, v8, vcc
	global_store_dwordx2 v[10:11], v[20:21], off
	s_waitcnt vmcnt(0)
	global_atomic_cmpswap_x2 v[18:19], v9, v[18:21], s[20:21] offset:32 glc
	s_waitcnt vmcnt(0)
	v_cmp_ne_u64_e32 vcc, v[18:19], v[20:21]
	s_and_saveexec_b64 s[40:41], vcc
	s_cbranch_execz .LBB0_434
; %bb.432:                              ;   in Loop: Header=BB0_366 Depth=2
	s_mov_b64 s[42:43], 0
.LBB0_433:                              ;   Parent Loop BB0_39 Depth=1
                                        ;     Parent Loop BB0_366 Depth=2
                                        ; =>    This Inner Loop Header: Depth=3
	s_sleep 1
	global_store_dwordx2 v[10:11], v[18:19], off
	v_mov_b32_e32 v16, s26
	v_mov_b32_e32 v17, s27
	s_waitcnt vmcnt(0)
	global_atomic_cmpswap_x2 v[16:17], v9, v[16:19], s[20:21] offset:32 glc
	s_waitcnt vmcnt(0)
	v_cmp_eq_u64_e32 vcc, v[16:17], v[18:19]
	v_mov_b32_e32 v19, v17
	s_or_b64 s[42:43], vcc, s[42:43]
	v_mov_b32_e32 v18, v16
	s_andn2_b64 exec, exec, s[42:43]
	s_cbranch_execnz .LBB0_433
.LBB0_434:                              ;   in Loop: Header=BB0_366 Depth=2
	s_or_b64 exec, exec, s[40:41]
	global_load_dwordx2 v[10:11], v9, s[20:21] offset:16
	s_mov_b64 s[42:43], exec
	v_mbcnt_lo_u32_b32 v8, s42, 0
	v_mbcnt_hi_u32_b32 v8, s43, v8
	v_cmp_eq_u32_e32 vcc, 0, v8
	s_and_saveexec_b64 s[40:41], vcc
	s_cbranch_execz .LBB0_436
; %bb.435:                              ;   in Loop: Header=BB0_366 Depth=2
	s_bcnt1_i32_b64 s13, s[42:43]
	v_mov_b32_e32 v8, s13
	s_waitcnt vmcnt(0)
	global_atomic_add_x2 v[10:11], v[8:9], off offset:8
.LBB0_436:                              ;   in Loop: Header=BB0_366 Depth=2
	s_or_b64 exec, exec, s[40:41]
	s_waitcnt vmcnt(0)
	global_load_dwordx2 v[16:17], v[10:11], off offset:16
	s_waitcnt vmcnt(0)
	v_cmp_eq_u64_e32 vcc, 0, v[16:17]
	s_cbranch_vccnz .LBB0_438
; %bb.437:                              ;   in Loop: Header=BB0_366 Depth=2
	global_load_dword v8, v[10:11], off offset:24
	s_waitcnt vmcnt(0)
	v_readfirstlane_b32 s13, v8
	s_and_b32 m0, s13, 0xffffff
	global_store_dwordx2 v[16:17], v[8:9], off
	s_sendmsg sendmsg(MSG_INTERRUPT)
.LBB0_438:                              ;   in Loop: Header=BB0_366 Depth=2
	s_or_b64 exec, exec, s[28:29]
	v_add_co_u32_e32 v10, vcc, v34, v50
	v_addc_co_u32_e32 v11, vcc, 0, v35, vcc
	s_branch .LBB0_442
.LBB0_439:                              ;   in Loop: Header=BB0_442 Depth=3
	s_or_b64 exec, exec, s[28:29]
	v_readfirstlane_b32 s13, v8
	s_cmp_eq_u32 s13, 0
	s_cbranch_scc1 .LBB0_441
; %bb.440:                              ;   in Loop: Header=BB0_442 Depth=3
	s_sleep 1
	s_cbranch_execnz .LBB0_442
	s_branch .LBB0_444
.LBB0_441:                              ;   in Loop: Header=BB0_366 Depth=2
	s_branch .LBB0_444
.LBB0_442:                              ;   Parent Loop BB0_39 Depth=1
                                        ;     Parent Loop BB0_366 Depth=2
                                        ; =>    This Inner Loop Header: Depth=3
	v_mov_b32_e32 v8, 1
	s_and_saveexec_b64 s[28:29], s[6:7]
	s_cbranch_execz .LBB0_439
; %bb.443:                              ;   in Loop: Header=BB0_442 Depth=3
	global_load_dword v8, v[36:37], off offset:20 glc
	s_waitcnt vmcnt(0)
	buffer_wbinvl1_vol
	v_and_b32_e32 v8, 1, v8
	s_branch .LBB0_439
.LBB0_444:                              ;   in Loop: Header=BB0_366 Depth=2
	global_load_dwordx4 v[16:19], v[10:11], off
	s_and_saveexec_b64 s[28:29], s[6:7]
	s_cbranch_execz .LBB0_365
; %bb.445:                              ;   in Loop: Header=BB0_366 Depth=2
	global_load_dwordx2 v[10:11], v9, s[20:21] offset:40
	global_load_dwordx2 v[22:23], v9, s[20:21] offset:24 glc
	global_load_dwordx2 v[18:19], v9, s[20:21]
	s_waitcnt vmcnt(2)
	v_readfirstlane_b32 s40, v10
	v_readfirstlane_b32 s41, v11
	s_add_u32 s13, s40, 1
	s_addc_u32 s42, s41, 0
	s_add_u32 s6, s13, s26
	s_addc_u32 s7, s42, s27
	s_cmp_eq_u64 s[6:7], 0
	s_cselect_b32 s7, s42, s7
	s_cselect_b32 s6, s13, s6
	s_and_b64 s[26:27], s[6:7], s[40:41]
	s_mul_i32 s13, s27, 24
	s_mul_hi_u32 s27, s26, 24
	s_mul_i32 s26, s26, 24
	s_add_i32 s13, s27, s13
	v_mov_b32_e32 v8, s13
	s_waitcnt vmcnt(0)
	v_add_co_u32_e32 v10, vcc, s26, v18
	v_addc_co_u32_e32 v11, vcc, v19, v8, vcc
	v_mov_b32_e32 v20, s6
	global_store_dwordx2 v[10:11], v[22:23], off
	v_mov_b32_e32 v21, s7
	s_waitcnt vmcnt(0)
	global_atomic_cmpswap_x2 v[20:21], v9, v[20:23], s[20:21] offset:24 glc
	s_waitcnt vmcnt(0)
	v_cmp_ne_u64_e32 vcc, v[20:21], v[22:23]
	s_and_b64 exec, exec, vcc
	s_cbranch_execz .LBB0_365
; %bb.446:                              ;   in Loop: Header=BB0_366 Depth=2
	s_mov_b64 s[26:27], 0
.LBB0_447:                              ;   Parent Loop BB0_39 Depth=1
                                        ;     Parent Loop BB0_366 Depth=2
                                        ; =>    This Inner Loop Header: Depth=3
	s_sleep 1
	global_store_dwordx2 v[10:11], v[20:21], off
	v_mov_b32_e32 v18, s6
	v_mov_b32_e32 v19, s7
	s_waitcnt vmcnt(0)
	global_atomic_cmpswap_x2 v[18:19], v9, v[18:21], s[20:21] offset:24 glc
	s_waitcnt vmcnt(0)
	v_cmp_eq_u64_e32 vcc, v[18:19], v[20:21]
	v_mov_b32_e32 v21, v19
	s_or_b64 s[26:27], vcc, s[26:27]
	v_mov_b32_e32 v20, v18
	s_andn2_b64 exec, exec, s[26:27]
	s_cbranch_execnz .LBB0_447
	s_branch .LBB0_365
.LBB0_448:                              ;   in Loop: Header=BB0_39 Depth=1
	s_branch .LBB0_478
.LBB0_449:                              ;   in Loop: Header=BB0_39 Depth=1
	s_cbranch_execz .LBB0_478
; %bb.450:                              ;   in Loop: Header=BB0_39 Depth=1
	v_readfirstlane_b32 s6, v38
	v_mov_b32_e32 v10, 0
	v_mov_b32_e32 v11, 0
	v_cmp_eq_u32_e64 s[6:7], s6, v38
	s_and_saveexec_b64 s[14:15], s[6:7]
	s_cbranch_execz .LBB0_456
; %bb.451:                              ;   in Loop: Header=BB0_39 Depth=1
	global_load_dwordx2 v[18:19], v9, s[20:21] offset:24 glc
	s_waitcnt vmcnt(0)
	buffer_wbinvl1_vol
	global_load_dwordx2 v[10:11], v9, s[20:21] offset:40
	global_load_dwordx2 v[16:17], v9, s[20:21]
	s_waitcnt vmcnt(1)
	v_and_b32_e32 v8, v10, v18
	v_and_b32_e32 v10, v11, v19
	v_mul_lo_u32 v10, v10, 24
	v_mul_hi_u32 v11, v8, 24
	v_mul_lo_u32 v8, v8, 24
	v_add_u32_e32 v11, v11, v10
	s_waitcnt vmcnt(0)
	v_add_co_u32_e32 v10, vcc, v16, v8
	v_addc_co_u32_e32 v11, vcc, v17, v11, vcc
	global_load_dwordx2 v[16:17], v[10:11], off glc
	s_waitcnt vmcnt(0)
	global_atomic_cmpswap_x2 v[10:11], v9, v[16:19], s[20:21] offset:24 glc
	s_waitcnt vmcnt(0)
	buffer_wbinvl1_vol
	v_cmp_ne_u64_e32 vcc, v[10:11], v[18:19]
	s_and_saveexec_b64 s[22:23], vcc
	s_cbranch_execz .LBB0_455
; %bb.452:                              ;   in Loop: Header=BB0_39 Depth=1
	s_mov_b64 s[24:25], 0
.LBB0_453:                              ;   Parent Loop BB0_39 Depth=1
                                        ; =>  This Inner Loop Header: Depth=2
	s_sleep 1
	global_load_dwordx2 v[16:17], v9, s[20:21] offset:40
	global_load_dwordx2 v[20:21], v9, s[20:21]
	v_mov_b32_e32 v19, v11
	v_mov_b32_e32 v18, v10
	s_waitcnt vmcnt(1)
	v_and_b32_e32 v8, v16, v18
	s_waitcnt vmcnt(0)
	v_mad_u64_u32 v[10:11], s[26:27], v8, 24, v[20:21]
	v_and_b32_e32 v16, v17, v19
	v_mov_b32_e32 v8, v11
	v_mad_u64_u32 v[16:17], s[26:27], v16, 24, v[8:9]
	v_mov_b32_e32 v11, v16
	global_load_dwordx2 v[16:17], v[10:11], off glc
	s_waitcnt vmcnt(0)
	global_atomic_cmpswap_x2 v[10:11], v9, v[16:19], s[20:21] offset:24 glc
	s_waitcnt vmcnt(0)
	buffer_wbinvl1_vol
	v_cmp_eq_u64_e32 vcc, v[10:11], v[18:19]
	s_or_b64 s[24:25], vcc, s[24:25]
	s_andn2_b64 exec, exec, s[24:25]
	s_cbranch_execnz .LBB0_453
; %bb.454:                              ;   in Loop: Header=BB0_39 Depth=1
	s_or_b64 exec, exec, s[24:25]
.LBB0_455:                              ;   in Loop: Header=BB0_39 Depth=1
	s_or_b64 exec, exec, s[22:23]
.LBB0_456:                              ;   in Loop: Header=BB0_39 Depth=1
	s_or_b64 exec, exec, s[14:15]
	global_load_dwordx2 v[16:17], v9, s[20:21] offset:40
	global_load_dwordx4 v[18:21], v9, s[20:21]
	v_readfirstlane_b32 s23, v11
	v_readfirstlane_b32 s22, v10
	s_mov_b64 s[14:15], exec
	s_waitcnt vmcnt(1)
	v_readfirstlane_b32 s24, v16
	v_readfirstlane_b32 s25, v17
	s_and_b64 s[24:25], s[24:25], s[22:23]
	s_mul_i32 s13, s25, 24
	s_mul_hi_u32 s26, s24, 24
	s_mul_i32 s27, s24, 24
	s_add_i32 s13, s26, s13
	v_mov_b32_e32 v8, s13
	s_waitcnt vmcnt(0)
	v_add_co_u32_e32 v22, vcc, s27, v18
	v_addc_co_u32_e32 v23, vcc, v19, v8, vcc
	s_and_saveexec_b64 s[26:27], s[6:7]
	s_cbranch_execz .LBB0_458
; %bb.457:                              ;   in Loop: Header=BB0_39 Depth=1
	v_mov_b32_e32 v10, s14
	v_mov_b32_e32 v11, s15
	global_store_dwordx4 v[22:23], v[10:13], off offset:8
.LBB0_458:                              ;   in Loop: Header=BB0_39 Depth=1
	s_or_b64 exec, exec, s[26:27]
	s_lshl_b64 s[14:15], s[24:25], 12
	v_mov_b32_e32 v8, s15
	v_add_co_u32_e32 v10, vcc, s14, v20
	v_addc_co_u32_e32 v8, vcc, v21, v8, vcc
	v_and_or_b32 v14, v14, s44, 34
	v_mov_b32_e32 v16, v9
	v_mov_b32_e32 v17, v9
	v_readfirstlane_b32 s24, v10
	v_readfirstlane_b32 s25, v8
	s_mov_b32 s15, s12
	s_mov_b32 s13, s12
	;; [unrolled: 1-line block ×3, first 2 shown]
	s_nop 1
	global_store_dwordx4 v50, v[14:17], s[24:25]
	s_nop 0
	v_mov_b32_e32 v17, s15
	v_mov_b32_e32 v16, s14
	;; [unrolled: 1-line block ×4, first 2 shown]
	global_store_dwordx4 v50, v[14:17], s[24:25] offset:16
	global_store_dwordx4 v50, v[14:17], s[24:25] offset:32
	;; [unrolled: 1-line block ×3, first 2 shown]
	s_and_saveexec_b64 s[14:15], s[6:7]
	s_cbranch_execz .LBB0_466
; %bb.459:                              ;   in Loop: Header=BB0_39 Depth=1
	global_load_dwordx2 v[26:27], v9, s[20:21] offset:32 glc
	global_load_dwordx2 v[10:11], v9, s[20:21] offset:40
	v_mov_b32_e32 v24, s22
	v_mov_b32_e32 v25, s23
	s_waitcnt vmcnt(0)
	v_readfirstlane_b32 s24, v10
	v_readfirstlane_b32 s25, v11
	s_and_b64 s[24:25], s[24:25], s[22:23]
	s_mul_i32 s13, s25, 24
	s_mul_hi_u32 s25, s24, 24
	s_mul_i32 s24, s24, 24
	s_add_i32 s13, s25, s13
	v_mov_b32_e32 v8, s13
	v_add_co_u32_e32 v10, vcc, s24, v18
	v_addc_co_u32_e32 v11, vcc, v19, v8, vcc
	global_store_dwordx2 v[10:11], v[26:27], off
	s_waitcnt vmcnt(0)
	global_atomic_cmpswap_x2 v[16:17], v9, v[24:27], s[20:21] offset:32 glc
	s_waitcnt vmcnt(0)
	v_cmp_ne_u64_e32 vcc, v[16:17], v[26:27]
	s_and_saveexec_b64 s[24:25], vcc
	s_cbranch_execz .LBB0_462
; %bb.460:                              ;   in Loop: Header=BB0_39 Depth=1
	s_mov_b64 s[26:27], 0
.LBB0_461:                              ;   Parent Loop BB0_39 Depth=1
                                        ; =>  This Inner Loop Header: Depth=2
	s_sleep 1
	global_store_dwordx2 v[10:11], v[16:17], off
	v_mov_b32_e32 v14, s22
	v_mov_b32_e32 v15, s23
	s_waitcnt vmcnt(0)
	global_atomic_cmpswap_x2 v[14:15], v9, v[14:17], s[20:21] offset:32 glc
	s_waitcnt vmcnt(0)
	v_cmp_eq_u64_e32 vcc, v[14:15], v[16:17]
	v_mov_b32_e32 v17, v15
	s_or_b64 s[26:27], vcc, s[26:27]
	v_mov_b32_e32 v16, v14
	s_andn2_b64 exec, exec, s[26:27]
	s_cbranch_execnz .LBB0_461
.LBB0_462:                              ;   in Loop: Header=BB0_39 Depth=1
	s_or_b64 exec, exec, s[24:25]
	global_load_dwordx2 v[10:11], v9, s[20:21] offset:16
	s_mov_b64 s[26:27], exec
	v_mbcnt_lo_u32_b32 v8, s26, 0
	v_mbcnt_hi_u32_b32 v8, s27, v8
	v_cmp_eq_u32_e32 vcc, 0, v8
	s_and_saveexec_b64 s[24:25], vcc
	s_cbranch_execz .LBB0_464
; %bb.463:                              ;   in Loop: Header=BB0_39 Depth=1
	s_bcnt1_i32_b64 s13, s[26:27]
	v_mov_b32_e32 v8, s13
	s_waitcnt vmcnt(0)
	global_atomic_add_x2 v[10:11], v[8:9], off offset:8
.LBB0_464:                              ;   in Loop: Header=BB0_39 Depth=1
	s_or_b64 exec, exec, s[24:25]
	s_waitcnt vmcnt(0)
	global_load_dwordx2 v[14:15], v[10:11], off offset:16
	s_waitcnt vmcnt(0)
	v_cmp_eq_u64_e32 vcc, 0, v[14:15]
	s_cbranch_vccnz .LBB0_466
; %bb.465:                              ;   in Loop: Header=BB0_39 Depth=1
	global_load_dword v8, v[10:11], off offset:24
	s_waitcnt vmcnt(0)
	v_readfirstlane_b32 s13, v8
	s_and_b32 m0, s13, 0xffffff
	global_store_dwordx2 v[14:15], v[8:9], off
	s_sendmsg sendmsg(MSG_INTERRUPT)
.LBB0_466:                              ;   in Loop: Header=BB0_39 Depth=1
	s_or_b64 exec, exec, s[14:15]
	s_branch .LBB0_470
.LBB0_467:                              ;   in Loop: Header=BB0_470 Depth=2
	s_or_b64 exec, exec, s[14:15]
	v_readfirstlane_b32 s13, v8
	s_cmp_eq_u32 s13, 0
	s_cbranch_scc1 .LBB0_469
; %bb.468:                              ;   in Loop: Header=BB0_470 Depth=2
	s_sleep 1
	s_cbranch_execnz .LBB0_470
	s_branch .LBB0_472
.LBB0_469:                              ;   in Loop: Header=BB0_39 Depth=1
	s_branch .LBB0_472
.LBB0_470:                              ;   Parent Loop BB0_39 Depth=1
                                        ; =>  This Inner Loop Header: Depth=2
	v_mov_b32_e32 v8, 1
	s_and_saveexec_b64 s[14:15], s[6:7]
	s_cbranch_execz .LBB0_467
; %bb.471:                              ;   in Loop: Header=BB0_470 Depth=2
	global_load_dword v8, v[22:23], off offset:20 glc
	s_waitcnt vmcnt(0)
	buffer_wbinvl1_vol
	v_and_b32_e32 v8, 1, v8
	s_branch .LBB0_467
.LBB0_472:                              ;   in Loop: Header=BB0_39 Depth=1
	s_and_saveexec_b64 s[14:15], s[6:7]
	s_xor_b64 s[6:7], exec, s[14:15]
	s_cbranch_execz .LBB0_477
; %bb.473:                              ;   in Loop: Header=BB0_39 Depth=1
	global_load_dwordx2 v[10:11], v9, s[20:21] offset:40
	global_load_dwordx2 v[18:19], v9, s[20:21] offset:24 glc
	global_load_dwordx2 v[14:15], v9, s[20:21]
	s_waitcnt vmcnt(2)
	v_readfirstlane_b32 s24, v10
	v_readfirstlane_b32 s25, v11
	s_add_u32 s13, s24, 1
	s_addc_u32 s26, s25, 0
	s_add_u32 s14, s13, s22
	s_addc_u32 s15, s26, s23
	s_cmp_eq_u64 s[14:15], 0
	s_cselect_b32 s15, s26, s15
	s_cselect_b32 s14, s13, s14
	s_and_b64 s[22:23], s[14:15], s[24:25]
	s_mul_i32 s13, s23, 24
	s_mul_hi_u32 s23, s22, 24
	s_mul_i32 s22, s22, 24
	s_add_i32 s13, s23, s13
	v_mov_b32_e32 v8, s13
	s_waitcnt vmcnt(0)
	v_add_co_u32_e32 v10, vcc, s22, v14
	v_addc_co_u32_e32 v11, vcc, v15, v8, vcc
	v_mov_b32_e32 v16, s14
	global_store_dwordx2 v[10:11], v[18:19], off
	v_mov_b32_e32 v17, s15
	s_waitcnt vmcnt(0)
	global_atomic_cmpswap_x2 v[16:17], v9, v[16:19], s[20:21] offset:24 glc
	s_waitcnt vmcnt(0)
	v_cmp_ne_u64_e32 vcc, v[16:17], v[18:19]
	s_and_saveexec_b64 s[22:23], vcc
	s_cbranch_execz .LBB0_476
; %bb.474:                              ;   in Loop: Header=BB0_39 Depth=1
	s_mov_b64 s[24:25], 0
.LBB0_475:                              ;   Parent Loop BB0_39 Depth=1
                                        ; =>  This Inner Loop Header: Depth=2
	s_sleep 1
	global_store_dwordx2 v[10:11], v[16:17], off
	v_mov_b32_e32 v14, s14
	v_mov_b32_e32 v15, s15
	s_waitcnt vmcnt(0)
	global_atomic_cmpswap_x2 v[14:15], v9, v[14:17], s[20:21] offset:24 glc
	s_waitcnt vmcnt(0)
	v_cmp_eq_u64_e32 vcc, v[14:15], v[16:17]
	v_mov_b32_e32 v17, v15
	s_or_b64 s[24:25], vcc, s[24:25]
	v_mov_b32_e32 v16, v14
	s_andn2_b64 exec, exec, s[24:25]
	s_cbranch_execnz .LBB0_475
.LBB0_476:                              ;   in Loop: Header=BB0_39 Depth=1
	s_or_b64 exec, exec, s[22:23]
.LBB0_477:                              ;   in Loop: Header=BB0_39 Depth=1
	s_or_b64 exec, exec, s[6:7]
.LBB0_478:                              ;   in Loop: Header=BB0_39 Depth=1
	s_mov_b64 s[6:7], exec
	v_mov_b32_e32 v8, v39
.LBB0_479:                              ;   in Loop: Header=BB0_39 Depth=1
	s_or_b64 exec, exec, s[18:19]
	s_orn2_b64 s[14:15], s[6:7], exec
.LBB0_480:                              ;   in Loop: Header=BB0_39 Depth=1
	s_or_b64 exec, exec, s[16:17]
	s_mov_b64 s[18:19], 0
.LBB0_481:                              ;   in Loop: Header=BB0_39 Depth=1
                                        ; implicit-def: $sgpr6_sgpr7
	s_branch .LBB0_38
.LBB0_482:
	v_mad_u64_u32 v[0:1], s[4:5], v48, 56, v[0:1]
	s_waitcnt vmcnt(0) lgkmcnt(0)
	s_setpc_b64 s[30:31]
.LBB0_483:
	v_cmp_lt_i32_e32 vcc, 2, v9
	v_mov_b32_e32 v9, v5
	s_and_saveexec_b64 s[6:7], vcc
	s_cbranch_execz .LBB0_485
; %bb.484:
	flat_load_ubyte v9, v[7:8] offset:2
	s_waitcnt vmcnt(0) lgkmcnt(0)
	v_lshlrev_b32_e32 v9, 16, v9
	v_xor_b32_e32 v9, v9, v5
.LBB0_485:
	s_or_b64 exec, exec, s[6:7]
	flat_load_ubyte v10, v[7:8] offset:1
	s_mov_b64 s[6:7], exec
	s_waitcnt vmcnt(0) lgkmcnt(0)
	v_lshlrev_b32_e32 v10, 8, v10
	v_xor_b32_e32 v10, v10, v9
                                        ; implicit-def: $vgpr9
	s_andn2_saveexec_b64 s[10:11], s[10:11]
	s_cbranch_execz .LBB0_7
.LBB0_486:
	v_cmp_eq_u32_e32 vcc, 1, v9
	s_andn2_b64 s[6:7], s[6:7], exec
	s_and_b64 s[12:13], vcc, exec
	s_or_b64 s[6:7], s[6:7], s[12:13]
	v_mov_b32_e32 v10, v5
	s_or_b64 exec, exec, s[10:11]
	s_and_saveexec_b64 s[10:11], s[6:7]
	s_cbranch_execnz .LBB0_8
	s_branch .LBB0_9
.LBB0_487:
	flat_load_ubyte v14, v[7:8] offset:2
	s_mov_b64 s[10:11], exec
	s_waitcnt vmcnt(0) lgkmcnt(0)
	v_lshlrev_b32_e32 v14, 16, v14
	s_andn2_saveexec_b64 s[12:13], s[12:13]
	s_cbranch_execz .LBB0_22
.LBB0_488:
	v_cmp_eq_u32_e32 vcc, 2, v9
	s_andn2_b64 s[10:11], s[10:11], exec
	s_and_b64 s[14:15], vcc, exec
	v_mov_b32_e32 v14, 0
	s_or_b64 s[10:11], s[10:11], s[14:15]
	s_or_b64 exec, exec, s[12:13]
	v_mov_b32_e32 v15, 0
	s_and_saveexec_b64 s[12:13], s[10:11]
	s_cbranch_execnz .LBB0_23
	s_branch .LBB0_24
.LBB0_489:
	flat_load_ubyte v9, v[7:8] offset:1
	s_mov_b64 s[10:11], exec
                                        ; implicit-def: $vgpr10
	s_waitcnt vmcnt(0) lgkmcnt(0)
	v_lshlrev_b32_e32 v9, 8, v9
	v_xor_b32_e32 v9, v9, v5
	s_andn2_saveexec_b64 s[12:13], s[12:13]
	s_cbranch_execz .LBB0_26
.LBB0_490:
	v_cmp_eq_u32_e32 vcc, 1, v10
	s_andn2_b64 s[10:11], s[10:11], exec
	s_and_b64 s[14:15], vcc, exec
	s_or_b64 s[10:11], s[10:11], s[14:15]
	v_mov_b32_e32 v9, v5
	s_or_b64 exec, exec, s[12:13]
	s_and_saveexec_b64 s[12:13], s[10:11]
	s_cbranch_execnz .LBB0_27
	s_branch .LBB0_28
.LBB0_491:
	flat_load_ubyte v9, v[7:8] offset:1
	s_mov_b64 s[10:11], exec
	s_waitcnt vmcnt(0) lgkmcnt(0)
	v_lshlrev_b32_e32 v9, 8, v9
	s_andn2_saveexec_b64 s[12:13], s[12:13]
	s_cbranch_execz .LBB0_32
.LBB0_492:
	v_cmp_eq_u32_e32 vcc, 1, v13
	s_andn2_b64 s[10:11], s[10:11], exec
	s_and_b64 s[14:15], vcc, exec
	v_mov_b32_e32 v9, 0
	s_or_b64 s[10:11], s[10:11], s[14:15]
	s_or_b64 exec, exec, s[12:13]
	s_and_saveexec_b64 s[12:13], s[10:11]
	s_cbranch_execnz .LBB0_33
	s_branch .LBB0_34
.Lfunc_end0:
	.size	_Z13ht_get_atomicP6loc_ht9cstr_typej, .Lfunc_end0-_Z13ht_get_atomicP6loc_ht9cstr_typej
                                        ; -- End function
	.set .L_Z13ht_get_atomicP6loc_ht9cstr_typej.num_vgpr, 51
	.set .L_Z13ht_get_atomicP6loc_ht9cstr_typej.num_agpr, 0
	.set .L_Z13ht_get_atomicP6loc_ht9cstr_typej.numbered_sgpr, 45
	.set .L_Z13ht_get_atomicP6loc_ht9cstr_typej.num_named_barrier, 0
	.set .L_Z13ht_get_atomicP6loc_ht9cstr_typej.private_seg_size, 0
	.set .L_Z13ht_get_atomicP6loc_ht9cstr_typej.uses_vcc, 1
	.set .L_Z13ht_get_atomicP6loc_ht9cstr_typej.uses_flat_scratch, 0
	.set .L_Z13ht_get_atomicP6loc_ht9cstr_typej.has_dyn_sized_stack, 0
	.set .L_Z13ht_get_atomicP6loc_ht9cstr_typej.has_recursion, 0
	.set .L_Z13ht_get_atomicP6loc_ht9cstr_typej.has_indirect_call, 0
	.section	.AMDGPU.csdata,"",@progbits
; Function info:
; codeLenInByte = 15468
; TotalNumSgprs: 49
; NumVgprs: 51
; ScratchSize: 0
; MemoryBound: 0
	.section	.text._Z22iterative_walks_kernelILi32EEvPjS0_PcS1_S1_S0_S0_PdP6loc_htS0_P11loc_ht_boolijS0_llliijS1_S1_S0_i,"axG",@progbits,_Z22iterative_walks_kernelILi32EEvPjS0_PcS1_S1_S0_S0_PdP6loc_htS0_P11loc_ht_boolijS0_llliijS1_S1_S0_i,comdat
	.protected	_Z22iterative_walks_kernelILi32EEvPjS0_PcS1_S1_S0_S0_PdP6loc_htS0_P11loc_ht_boolijS0_llliijS1_S1_S0_i ; -- Begin function _Z22iterative_walks_kernelILi32EEvPjS0_PcS1_S1_S0_S0_PdP6loc_htS0_P11loc_ht_boolijS0_llliijS1_S1_S0_i
	.globl	_Z22iterative_walks_kernelILi32EEvPjS0_PcS1_S1_S0_S0_PdP6loc_htS0_P11loc_ht_boolijS0_llliijS1_S1_S0_i
	.p2align	8
	.type	_Z22iterative_walks_kernelILi32EEvPjS0_PcS1_S1_S0_S0_PdP6loc_htS0_P11loc_ht_boolijS0_llliijS1_S1_S0_i,@function
_Z22iterative_walks_kernelILi32EEvPjS0_PcS1_S1_S0_S0_PdP6loc_htS0_P11loc_ht_boolijS0_llliijS1_S1_S0_i: ; @_Z22iterative_walks_kernelILi32EEvPjS0_PcS1_S1_S0_S0_PdP6loc_htS0_P11loc_ht_boolijS0_llliijS1_S1_S0_i
; %bb.0:
	s_mov_b64 s[34:35], s[6:7]
	s_load_dword s6, s[6:7], 0xbc
	s_nop 0
	s_load_dword s7, s[34:35], 0xa8
	s_add_u32 s0, s0, s9
	s_addc_u32 s1, s1, 0
	s_add_u32 s64, s34, 0xb0
	s_addc_u32 s65, s35, 0
	s_waitcnt lgkmcnt(0)
	s_and_b32 s6, s6, 0xffff
	s_mul_i32 s8, s8, s6
	v_add_u32_e32 v3, s8, v0
	v_lshrrev_b32_e32 v9, 5, v3
	v_cmp_gt_i32_e32 vcc, s7, v9
	s_movk_i32 s32, 0x3400
	s_and_saveexec_b64 s[6:7], vcc
	s_cbranch_execz .LBB1_722
; %bb.1:
	s_load_dwordx16 s[48:63], s[34:35], 0x8
	s_load_dwordx4 s[8:11], s[34:35], 0x48
	s_load_dwordx2 s[16:17], s[34:35], 0x58
	s_load_dwordx2 s[66:67], s[34:35], 0x70
	s_load_dwordx4 s[12:15], s[34:35], 0x90
	v_cmp_lt_u32_e64 s[36:37], 31, v3
                                        ; implicit-def: $vgpr3_vgpr4
                                        ; kill: killed $vgpr3_vgpr4
                                        ; implicit-def: $vgpr3_vgpr4
                                        ; kill: killed $vgpr3_vgpr4
                                        ; implicit-def: $vgpr3
	v_lshlrev_b32_e32 v17, 2, v9
                                        ; kill: killed $vgpr3
                                        ; implicit-def: $vgpr3_vgpr4
                                        ; implicit-def: $vgpr35_vgpr36
                                        ; implicit-def: $vgpr37_vgpr38
                                        ; implicit-def: $vgpr33_vgpr34
                                        ; implicit-def: $vgpr42
                                        ; implicit-def: $vgpr40_vgpr41
                                        ; kill: killed $vgpr3_vgpr4
                                        ; implicit-def: $vgpr39
                                        ; implicit-def: $vgpr3_vgpr4
	s_and_saveexec_b64 s[6:7], s[36:37]
	s_xor_b64 s[18:19], exec, s[6:7]
	s_cbranch_execz .LBB1_7
; %bb.2:
	s_waitcnt lgkmcnt(0)
	global_load_dwordx2 v[7:8], v17, s[48:49] offset:-4
	global_load_dwordx2 v[5:6], v17, s[58:59] offset:-4
	v_lshlrev_b32_e32 v3, 3, v9
	global_load_dwordx2 v[3:4], v3, s[60:61]
	v_mov_b32_e32 v10, s52
	v_mov_b32_e32 v11, s53
	buffer_store_dword v10, off, s[0:3], 0 offset:136 ; 4-byte Folded Spill
	s_nop 0
	buffer_store_dword v11, off, s[0:3], 0 offset:140 ; 4-byte Folded Spill
	s_waitcnt vmcnt(3)
	v_cmp_ne_u32_e32 vcc, 0, v5
	s_and_saveexec_b64 s[20:21], vcc
	s_cbranch_execz .LBB1_4
; %bb.3:
	v_add_u32_e32 v10, -1, v5
	v_mov_b32_e32 v11, 0
	v_lshlrev_b64 v[10:11], 2, v[10:11]
	v_mov_b32_e32 v12, s57
	v_add_co_u32_e64 v10, s[6:7], s56, v10
	v_addc_co_u32_e64 v11, s[6:7], v12, v11, s[6:7]
	global_load_dword v10, v[10:11], off
	v_mov_b32_e32 v11, s53
	s_waitcnt vmcnt(0)
	v_add_co_u32_e64 v10, s[6:7], s52, v10
	v_addc_co_u32_e64 v11, s[6:7], 0, v11, s[6:7]
	buffer_store_dword v10, off, s[0:3], 0 offset:136 ; 4-byte Folded Spill
	s_nop 0
	buffer_store_dword v11, off, s[0:3], 0 offset:140 ; 4-byte Folded Spill
.LBB1_4:
	s_or_b64 exec, exec, s[20:21]
	v_mov_b32_e32 v10, s54
	v_mov_b32_e32 v11, s55
	buffer_store_dword v10, off, s[0:3], 0 offset:144 ; 4-byte Folded Spill
	s_nop 0
	buffer_store_dword v11, off, s[0:3], 0 offset:148 ; 4-byte Folded Spill
	s_and_saveexec_b64 s[6:7], vcc
	s_cbranch_execz .LBB1_6
; %bb.5:
	v_add_u32_e32 v10, -1, v5
	v_mov_b32_e32 v11, 0
	v_lshlrev_b64 v[10:11], 2, v[10:11]
	v_mov_b32_e32 v12, s57
	v_add_co_u32_e32 v10, vcc, s56, v10
	v_addc_co_u32_e32 v11, vcc, v12, v11, vcc
	global_load_dword v10, v[10:11], off
	v_mov_b32_e32 v11, s55
	s_waitcnt vmcnt(0)
	v_add_co_u32_e32 v10, vcc, s54, v10
	v_addc_co_u32_e32 v11, vcc, 0, v11, vcc
	buffer_store_dword v10, off, s[0:3], 0 offset:144 ; 4-byte Folded Spill
	s_nop 0
	buffer_store_dword v11, off, s[0:3], 0 offset:148 ; 4-byte Folded Spill
.LBB1_6:
	s_or_b64 exec, exec, s[6:7]
	global_load_dwordx2 v[10:11], v17, s[8:9] offset:-4
	v_mad_u64_u32 v[12:13], s[6:7], s66, v9, 0
	v_mov_b32_e32 v14, s51
	v_add_co_u32_e32 v15, vcc, s50, v7
	v_mad_u64_u32 v[33:34], s[6:7], v12, 24, s[10:11]
	v_addc_co_u32_e32 v16, vcc, 0, v14, vcc
	v_mad_u64_u32 v[13:14], s[6:7], s67, v9, v[13:14]
	v_sub_u32_e32 v7, v8, v7
	buffer_store_dword v15, off, s[0:3], 0 offset:168 ; 4-byte Folded Spill
	s_nop 0
	buffer_store_dword v16, off, s[0:3], 0 offset:172 ; 4-byte Folded Spill
	buffer_store_dword v7, off, s[0:3], 0 offset:164 ; 4-byte Folded Spill
	v_mov_b32_e32 v7, v34
	v_mad_u64_u32 v[7:8], s[6:7], v13, 24, v[7:8]
	v_mov_b32_e32 v14, s14
	s_add_u32 s6, s66, s17
	v_mov_b32_e32 v15, s15
	v_mad_u64_u32 v[35:36], s[6:7], s6, v9, v[14:15]
	v_mov_b32_e32 v34, v7
	s_addc_u32 s6, s67, 0
	v_mov_b32_e32 v7, v36
	v_mad_u64_u32 v[7:8], s[6:7], s6, v9, v[7:8]
	v_mov_b32_e32 v14, s13
	v_add_co_u32_e32 v37, vcc, s12, v12
	v_addc_co_u32_e32 v38, vcc, v14, v13, vcc
	v_mov_b32_e32 v36, v7
	v_sub_u32_e32 v39, v6, v5
	s_waitcnt vmcnt(3)
	v_mad_u64_u32 v[40:41], s[6:7], v10, 56, s[62:63]
	v_sub_u32_e32 v42, v11, v10
.LBB1_7:
	s_or_saveexec_b64 s[6:7], s[18:19]
	s_load_dwordx2 s[22:23], s[34:35], 0xa0
	s_xor_b64 exec, exec, s[6:7]
	s_cbranch_execz .LBB1_9
; %bb.8:
	s_waitcnt lgkmcnt(0)
	s_load_dwordx2 s[18:19], s[60:61], 0x0
	s_load_dword s17, s[58:59], 0x0
	s_load_dword s20, s[48:49], 0x0
	;; [unrolled: 1-line block ×3, first 2 shown]
	v_mov_b32_e32 v5, s50
	v_mov_b32_e32 v6, s51
	buffer_store_dword v5, off, s[0:3], 0 offset:168 ; 4-byte Folded Spill
	s_nop 0
	buffer_store_dword v6, off, s[0:3], 0 offset:172 ; 4-byte Folded Spill
	s_waitcnt lgkmcnt(0)
	v_mov_b32_e32 v5, s20
	buffer_store_dword v5, off, s[0:3], 0 offset:164 ; 4-byte Folded Spill
	v_mov_b32_e32 v5, s54
	v_mov_b32_e32 v6, s55
	buffer_store_dword v5, off, s[0:3], 0 offset:144 ; 4-byte Folded Spill
	s_nop 0
	buffer_store_dword v6, off, s[0:3], 0 offset:148 ; 4-byte Folded Spill
	v_mov_b32_e32 v3, s18
	v_mov_b32_e32 v40, s62
	;; [unrolled: 1-line block ×14, first 2 shown]
	buffer_store_dword v5, off, s[0:3], 0 offset:136 ; 4-byte Folded Spill
	s_nop 0
	buffer_store_dword v6, off, s[0:3], 0 offset:140 ; 4-byte Folded Spill
.LBB1_9:
	s_or_b64 exec, exec, s[6:7]
	v_and_b32_e32 v5, 31, v0
	buffer_store_dword v5, off, s[0:3], 0 offset:72 ; 4-byte Folded Spill
	s_nop 0
	buffer_store_dword v6, off, s[0:3], 0 offset:76 ; 4-byte Folded Spill
	buffer_load_dword v5, off, s[0:3], 0 offset:164 ; 4-byte Folded Reload
	s_waitcnt lgkmcnt(0)
	s_cmp_gt_i32 s16, 20
	s_cselect_b64 s[6:7], -1, 0
	s_waitcnt vmcnt(0)
	v_min_i32_e32 v5, 0x79, v5
	v_cmp_le_i32_e32 vcc, s16, v5
	buffer_store_dword v5, off, s[0:3], 0 offset:184 ; 4-byte Folded Spill
	s_and_b64 s[6:7], s[6:7], vcc
	v_mov_b32_e32 v5, 0
	s_and_saveexec_b64 s[60:61], s[6:7]
	s_cbranch_execz .LBB1_720
; %bb.10:
	s_load_dwordx2 s[6:7], s[4:5], 0x4
	s_load_dword s33, s[34:35], 0x88
	v_and_b32_e32 v6, 31, v0
	v_cvt_i32_f64_e32 v3, v[3:4]
	v_mov_b32_e32 v5, s59
	s_waitcnt lgkmcnt(0)
	s_lshr_b32 s4, s6, 16
	s_mul_i32 s4, s4, s7
	v_mul_lo_u32 v0, s4, v0
	buffer_store_dword v17, off, s[0:3], 0 offset:188 ; 4-byte Folded Spill
	v_mov_b32_e32 v45, 0
	v_mov_b32_e32 v7, v45
	v_mad_u32_u24 v0, v1, s7, v0
	v_add_lshl_u32 v47, v0, v2, 4
	v_add_co_u32_e32 v0, vcc, s58, v17
	v_addc_co_u32_e32 v1, vcc, 0, v5, vcc
	buffer_store_dword v0, off, s[0:3], 0 offset:64 ; 4-byte Folded Spill
	s_nop 0
	buffer_store_dword v1, off, s[0:3], 0 offset:68 ; 4-byte Folded Spill
	v_cvt_f64_i32_e32 v[0:1], v3
	s_mov_b32 s6, 0x9999999a
	s_mov_b32 s7, 0x3fc99999
	v_cmp_lt_u32_e64 s[38:39], v6, v42
	v_mul_f64 v[2:3], v[0:1], s[6:7]
	s_mov_b32 s6, 0x33333333
	s_mov_b32 s7, 0x3fd33333
	v_mul_f64 v[0:1], v[0:1], s[6:7]
	v_cmp_gt_i64_e64 s[48:49], s[66:67], v[6:7]
	v_cmp_eq_u32_e64 s[50:51], 0, v6
	s_getpc_b64 s[4:5]
	s_add_u32 s4, s4, .str.3@rel32@lo+4
	s_addc_u32 s5, s5, .str.3@rel32@hi+12
	s_cmp_lg_u64 s[4:5], 0
	v_max_f64 v[48:49], v[2:3], 2.0
	s_cselect_b64 s[70:71], -1, 0
	s_getpc_b64 s[4:5]
	s_add_u32 s4, s4, .str.4@rel32@lo+4
	s_addc_u32 s5, s5, .str.4@rel32@hi+12
	v_max_f64 v[0:1], v[0:1], 2.0
	s_cmp_lg_u64 s[4:5], 0
	s_cselect_b64 s[72:73], -1, 0
	s_cmp_gt_i32 s66, 0
	buffer_store_dword v0, off, s[0:3], 0 offset:80 ; 4-byte Folded Spill
	s_nop 0
	buffer_store_dword v1, off, s[0:3], 0 offset:84 ; 4-byte Folded Spill
	buffer_store_dword v6, off, s[0:3], 0 offset:72 ; 4-byte Folded Spill
	s_nop 0
	buffer_store_dword v7, off, s[0:3], 0 offset:76 ; 4-byte Folded Spill
	v_cvt_f32_u32_e32 v0, s66
	v_cvt_f32_u32_e32 v1, v42
	s_cselect_b64 s[74:75], -1, 0
	s_sub_i32 s4, 0, s66
	v_rcp_iflag_f32_e32 v0, v0
	v_rcp_iflag_f32_e32 v1, v1
                                        ; implicit-def: $vgpr63 : SGPR spill to VGPR lane
	v_mov_b32_e32 v54, 1
	v_writelane_b32 v63, s22, 0
	v_mul_f32_e32 v0, 0x4f7ffffe, v0
	v_cvt_u32_f32_e32 v2, v0
	v_mul_f32_e32 v0, 0x4f7ffffe, v1
	v_cvt_u32_f32_e32 v3, v0
	v_sub_u32_e32 v1, 0, v42
	v_mul_lo_u32 v0, s4, v2
	v_writelane_b32 v63, s23, 1
	v_mul_lo_u32 v1, v1, v3
	s_mov_b32 s52, 0
	v_mul_hi_u32 v4, v2, v0
	v_cmp_ne_u32_e64 s[46:47], 0, v39
	v_mul_hi_u32 v5, v3, v1
	s_mov_b64 s[62:63], 0
	v_add_u32_e32 v2, v2, v4
	buffer_store_dword v2, off, s[0:3], 0 offset:88 ; 4-byte Folded Spill
	v_add_u32_e32 v2, v3, v5
	buffer_store_dword v2, off, s[0:3], 0 offset:132 ; 4-byte Folded Spill
	s_mov_b32 s45, 16
	s_mov_b32 s86, 32
	;; [unrolled: 1-line block ×3, first 2 shown]
	s_movk_i32 s88, 0xff1d
	s_movk_i32 s89, 0x4e
	;; [unrolled: 1-line block ×9, first 2 shown]
	s_mov_b32 s97, 0x5bd1e995
	s_movk_i32 s98, 0x58
	s_movk_i32 s99, 0x57
	v_mov_b32_e32 v53, 2
	v_mov_b32_e32 v43, 33
	v_mov_b32_e32 v50, -1
	v_mov_b32_e32 v4, s16
	v_mad_u64_u32 v[0:1], s[4:5], v6, 56, v[40:41]
	v_add_co_u32_e32 v0, vcc, 8, v0
	v_addc_co_u32_e32 v1, vcc, 0, v1, vcc
	buffer_store_dword v0, off, s[0:3], 0 offset:176 ; 4-byte Folded Spill
	s_nop 0
	buffer_store_dword v1, off, s[0:3], 0 offset:180 ; 4-byte Folded Spill
	v_mbcnt_lo_u32_b32 v0, -1, 0
	v_mbcnt_hi_u32_b32 v58, -1, v0
	v_mov_b32_e32 v0, v45
	buffer_store_dword v0, off, s[0:3], 0 offset:152 ; 4-byte Folded Spill
	v_mov_b32_e32 v0, v54
	buffer_store_dword v0, off, s[0:3], 0 offset:156 ; 4-byte Folded Spill
	;; [unrolled: 2-line block ×3, first 2 shown]
	buffer_store_dword v33, off, s[0:3], 0 offset:92 ; 4-byte Folded Spill
	s_nop 0
	buffer_store_dword v34, off, s[0:3], 0 offset:96 ; 4-byte Folded Spill
	buffer_store_dword v35, off, s[0:3], 0 offset:100 ; 4-byte Folded Spill
	s_nop 0
	buffer_store_dword v36, off, s[0:3], 0 offset:104 ; 4-byte Folded Spill
	;; [unrolled: 3-line block ×3, first 2 shown]
	buffer_store_dword v39, off, s[0:3], 0 offset:116 ; 4-byte Folded Spill
	buffer_store_dword v48, off, s[0:3], 0 offset:120 ; 4-byte Folded Spill
	s_nop 0
	buffer_store_dword v49, off, s[0:3], 0 offset:124 ; 4-byte Folded Spill
	buffer_store_dword v47, off, s[0:3], 0 offset:128 ; 4-byte Folded Spill
	s_branch .LBB1_13
.LBB1_11:                               ;   in Loop: Header=BB1_13 Depth=1
	s_or_b64 exec, exec, s[8:9]
	s_orn2_b64 s[8:9], s[4:5], exec
.LBB1_12:                               ;   in Loop: Header=BB1_13 Depth=1
	s_or_b64 exec, exec, s[6:7]
	s_and_b64 s[4:5], exec, s[8:9]
	s_or_b64 s[62:63], s[4:5], s[62:63]
	s_andn2_b64 exec, exec, s[62:63]
	s_cbranch_execz .LBB1_719
.LBB1_13:                               ; =>This Loop Header: Depth=1
                                        ;     Child Loop BB1_15 Depth 2
                                        ;     Child Loop BB1_20 Depth 2
                                        ;       Child Loop BB1_34 Depth 3
                                        ;         Child Loop BB1_38 Depth 4
                                        ;         Child Loop BB1_46 Depth 4
	;; [unrolled: 1-line block ×9, first 2 shown]
                                        ;           Child Loop BB1_67 Depth 5
                                        ;           Child Loop BB1_75 Depth 5
	;; [unrolled: 1-line block ×11, first 2 shown]
                                        ;     Child Loop BB1_221 Depth 2
                                        ;       Child Loop BB1_330 Depth 3
                                        ;       Child Loop BB1_338 Depth 3
	;; [unrolled: 1-line block ×9, first 2 shown]
                                        ;         Child Loop BB1_431 Depth 4
                                        ;         Child Loop BB1_439 Depth 4
	;; [unrolled: 1-line block ×11, first 2 shown]
                                        ;     Child Loop BB1_574 Depth 2
                                        ;     Child Loop BB1_577 Depth 2
	;; [unrolled: 1-line block ×3, first 2 shown]
                                        ;       Child Loop BB1_590 Depth 3
                                        ;       Child Loop BB1_609 Depth 3
	;; [unrolled: 1-line block ×3, first 2 shown]
                                        ;         Child Loop BB1_620 Depth 4
                                        ;       Child Loop BB1_634 Depth 3
                                        ;       Child Loop BB1_653 Depth 3
                                        ;       Child Loop BB1_662 Depth 3
                                        ;         Child Loop BB1_664 Depth 4
                                        ;     Child Loop BB1_705 Depth 2
	s_and_saveexec_b64 s[6:7], s[38:39]
	s_cbranch_execz .LBB1_16
; %bb.14:                               ;   in Loop: Header=BB1_13 Depth=1
	buffer_load_dword v0, off, s[0:3], 0 offset:176 ; 4-byte Folded Reload
	buffer_load_dword v1, off, s[0:3], 0 offset:180 ; 4-byte Folded Reload
	buffer_load_dword v2, off, s[0:3], 0 offset:72 ; 4-byte Folded Reload
	buffer_load_dword v3, off, s[0:3], 0 offset:76 ; 4-byte Folded Reload
	s_mov_b64 s[8:9], 0
	s_waitcnt vmcnt(0)
.LBB1_15:                               ;   Parent Loop BB1_13 Depth=1
                                        ; =>  This Inner Loop Header: Depth=2
	v_add_u32_e32 v2, 32, v2
	global_store_dword v[0:1], v50, off
	v_add_co_u32_e32 v0, vcc, 0x700, v0
	v_cmp_ge_u32_e64 s[4:5], v2, v42
	s_or_b64 s[8:9], s[4:5], s[8:9]
	v_addc_co_u32_e32 v1, vcc, 0, v1, vcc
	s_andn2_b64 exec, exec, s[8:9]
	s_cbranch_execnz .LBB1_15
.LBB1_16:                               ;   in Loop: Header=BB1_13 Depth=1
	s_or_b64 exec, exec, s[6:7]
	s_and_saveexec_b64 s[76:77], s[46:47]
	s_cbranch_execz .LBB1_217
; %bb.17:                               ;   in Loop: Header=BB1_13 Depth=1
	v_mov_b32_e32 v62, 0
	s_mov_b64 s[78:79], 0
	s_mov_b32 s68, 0
	s_branch .LBB1_20
.LBB1_18:                               ;   in Loop: Header=BB1_20 Depth=2
	s_or_b64 exec, exec, s[82:83]
	buffer_load_dword v33, off, s[0:3], 0 offset:92 ; 4-byte Folded Reload
	buffer_load_dword v34, off, s[0:3], 0 offset:96 ; 4-byte Folded Reload
	;; [unrolled: 1-line block ×10, first 2 shown]
	v_add_u32_e32 v62, v60, v62
	v_mov_b32_e32 v50, -1
.LBB1_19:                               ;   in Loop: Header=BB1_20 Depth=2
	s_or_b64 exec, exec, s[80:81]
	s_add_i32 s68, s68, 1
	s_waitcnt vmcnt(0)
	v_cmp_eq_u32_e32 vcc, s68, v39
	s_or_b64 s[78:79], vcc, s[78:79]
	s_andn2_b64 exec, exec, s[78:79]
	s_cbranch_execz .LBB1_217
.LBB1_20:                               ;   Parent Loop BB1_13 Depth=1
                                        ; =>  This Loop Header: Depth=2
                                        ;       Child Loop BB1_34 Depth 3
                                        ;         Child Loop BB1_38 Depth 4
                                        ;         Child Loop BB1_46 Depth 4
	;; [unrolled: 1-line block ×9, first 2 shown]
                                        ;           Child Loop BB1_67 Depth 5
                                        ;           Child Loop BB1_75 Depth 5
	;; [unrolled: 1-line block ×11, first 2 shown]
	s_cmp_lg_u32 s68, 0
	s_cbranch_scc0 .LBB1_23
; %bb.21:                               ;   in Loop: Header=BB1_20 Depth=2
	buffer_load_dword v0, off, s[0:3], 0 offset:64 ; 4-byte Folded Reload
	buffer_load_dword v1, off, s[0:3], 0 offset:68 ; 4-byte Folded Reload
	v_mov_b32_e32 v5, s57
	v_mov_b32_e32 v6, s57
	s_waitcnt vmcnt(0)
	global_load_dword v0, v[0:1], off
	s_waitcnt vmcnt(0)
	v_sub_u32_e32 v0, v0, v39
	v_add_u32_e32 v44, s68, v0
	v_lshlrev_b64 v[0:1], 2, v[44:45]
	v_add_u32_e32 v44, -1, v44
	v_lshlrev_b64 v[2:3], 2, v[44:45]
	v_add_co_u32_e32 v0, vcc, s56, v0
	v_addc_co_u32_e32 v1, vcc, v5, v1, vcc
	v_add_co_u32_e32 v2, vcc, s56, v2
	v_addc_co_u32_e32 v3, vcc, v6, v3, vcc
	global_load_dword v0, v[0:1], off
	s_nop 0
	global_load_dword v1, v[2:3], off
	s_waitcnt vmcnt(0)
	v_sub_u32_e32 v60, v0, v1
	s_cbranch_execz .LBB1_24
; %bb.22:                               ;   in Loop: Header=BB1_20 Depth=2
	v_cmp_ge_i32_e32 vcc, v60, v4
	s_and_saveexec_b64 s[80:81], vcc
	s_cbranch_execz .LBB1_19
	s_branch .LBB1_31
.LBB1_23:                               ;   in Loop: Header=BB1_20 Depth=2
                                        ; implicit-def: $vgpr60
.LBB1_24:                               ;   in Loop: Header=BB1_20 Depth=2
                                        ; implicit-def: $vgpr60
	s_and_saveexec_b64 s[4:5], s[36:37]
	s_xor_b64 s[4:5], exec, s[4:5]
	s_cbranch_execz .LBB1_28
; %bb.25:                               ;   in Loop: Header=BB1_20 Depth=2
	buffer_load_dword v0, off, s[0:3], 0 offset:64 ; 4-byte Folded Reload
	buffer_load_dword v1, off, s[0:3], 0 offset:68 ; 4-byte Folded Reload
	v_mov_b32_e32 v3, s57
	s_waitcnt vmcnt(0)
	global_load_dwordx2 v[0:1], v[0:1], off offset:-4
	s_waitcnt vmcnt(0)
	v_sub_u32_e32 v44, v1, v39
	v_lshlrev_b64 v[1:2], 2, v[44:45]
	v_add_co_u32_e32 v1, vcc, s56, v1
	v_addc_co_u32_e32 v2, vcc, v3, v2, vcc
	global_load_dword v60, v[1:2], off
	v_cmp_ne_u32_e32 vcc, 0, v0
	s_and_saveexec_b64 s[6:7], vcc
	s_cbranch_execz .LBB1_27
; %bb.26:                               ;   in Loop: Header=BB1_20 Depth=2
	v_add_u32_e32 v44, -1, v0
	v_lshlrev_b64 v[0:1], 2, v[44:45]
	v_mov_b32_e32 v2, s57
	v_add_co_u32_e32 v0, vcc, s56, v0
	v_addc_co_u32_e32 v1, vcc, v2, v1, vcc
	global_load_dword v0, v[0:1], off
	s_waitcnt vmcnt(0)
	v_sub_u32_e32 v60, v60, v0
.LBB1_27:                               ;   in Loop: Header=BB1_20 Depth=2
	s_or_b64 exec, exec, s[6:7]
.LBB1_28:                               ;   in Loop: Header=BB1_20 Depth=2
	s_andn2_saveexec_b64 s[4:5], s[4:5]
	s_cbranch_execz .LBB1_30
; %bb.29:                               ;   in Loop: Header=BB1_20 Depth=2
	global_load_dword v0, v45, s[58:59]
	v_mov_b32_e32 v2, s57
	s_waitcnt vmcnt(0)
	v_sub_u32_e32 v44, v0, v39
	v_lshlrev_b64 v[0:1], 2, v[44:45]
	v_add_co_u32_e32 v0, vcc, s56, v0
	v_addc_co_u32_e32 v1, vcc, v2, v1, vcc
	global_load_dword v60, v[0:1], off
.LBB1_30:                               ;   in Loop: Header=BB1_20 Depth=2
	s_or_b64 exec, exec, s[4:5]
	s_waitcnt vmcnt(0)
	v_cmp_ge_i32_e32 vcc, v60, v4
	s_and_saveexec_b64 s[80:81], vcc
	s_cbranch_execz .LBB1_19
.LBB1_31:                               ;   in Loop: Header=BB1_20 Depth=2
	buffer_load_dword v0, off, s[0:3], 0 offset:72 ; 4-byte Folded Reload
	buffer_load_dword v1, off, s[0:3], 0 offset:76 ; 4-byte Folded Reload
	v_sub_u32_e32 v47, v60, v4
	s_waitcnt vmcnt(0)
	v_cmp_lt_i32_e32 vcc, v0, v47
	s_and_saveexec_b64 s[82:83], vcc
	s_cbranch_execz .LBB1_18
; %bb.32:                               ;   in Loop: Header=BB1_20 Depth=2
	buffer_load_dword v0, off, s[0:3], 0 offset:136 ; 4-byte Folded Reload
	buffer_load_dword v1, off, s[0:3], 0 offset:140 ; 4-byte Folded Reload
	v_mov_b32_e32 v2, v62
	s_mov_b64 s[84:85], 0
	s_waitcnt vmcnt(0)
	v_add_co_u32_e32 v55, vcc, v0, v2
	s_waitcnt vmcnt(0)
	v_addc_co_u32_e32 v56, vcc, 0, v1, vcc
	buffer_load_dword v0, off, s[0:3], 0 offset:144 ; 4-byte Folded Reload
	buffer_load_dword v1, off, s[0:3], 0 offset:148 ; 4-byte Folded Reload
	s_waitcnt vmcnt(0)
	v_add_co_u32_e32 v59, vcc, v0, v2
	s_waitcnt vmcnt(0)
	v_addc_co_u32_e32 v57, vcc, 0, v1, vcc
	buffer_load_dword v0, off, s[0:3], 0 offset:72 ; 4-byte Folded Reload
	buffer_load_dword v1, off, s[0:3], 0 offset:76 ; 4-byte Folded Reload
	s_waitcnt vmcnt(0)
	v_mov_b32_e32 v61, v0
	s_branch .LBB1_34
.LBB1_33:                               ;   in Loop: Header=BB1_34 Depth=3
	s_or_b64 exec, exec, s[4:5]
	v_add_u32_e32 v61, 32, v61
	v_cmp_ge_i32_e32 vcc, v61, v47
	s_or_b64 s[84:85], vcc, s[84:85]
	s_andn2_b64 exec, exec, s[84:85]
	s_cbranch_execz .LBB1_18
.LBB1_34:                               ;   Parent Loop BB1_13 Depth=1
                                        ;     Parent Loop BB1_20 Depth=2
                                        ; =>    This Loop Header: Depth=3
                                        ;         Child Loop BB1_38 Depth 4
                                        ;         Child Loop BB1_46 Depth 4
	;; [unrolled: 1-line block ×9, first 2 shown]
                                        ;           Child Loop BB1_67 Depth 5
                                        ;           Child Loop BB1_75 Depth 5
	;; [unrolled: 1-line block ×11, first 2 shown]
	s_add_u32 s8, s34, 0xb0
	v_add_co_u32_e32 v2, vcc, v55, v61
	s_addc_u32 s9, s35, 0
	v_addc_co_u32_e32 v3, vcc, 0, v56, vcc
	s_getpc_b64 s[4:5]
	s_add_u32 s4, s4, _Z13ht_get_atomicP6loc_ht9cstr_typej@rel32@lo+4
	s_addc_u32 s5, s5, _Z13ht_get_atomicP6loc_ht9cstr_typej@rel32@hi+12
	v_mov_b32_e32 v0, v40
	s_waitcnt vmcnt(0)
	v_mov_b32_e32 v1, v41
	v_mov_b32_e32 v5, v42
	s_swappc_b64 s[30:31], s[4:5]
	v_add_u32_e32 v27, v61, v4
	v_cmp_ge_i32_e32 vcc, v27, v60
	s_and_saveexec_b64 s[6:7], vcc
	s_cbranch_execz .LBB1_174
; %bb.35:                               ;   in Loop: Header=BB1_34 Depth=3
	s_load_dwordx2 s[8:9], s[64:65], 0x50
	v_readfirstlane_b32 s4, v58
	v_mov_b32_e32 v2, 0
	v_mov_b32_e32 v3, 0
	v_cmp_eq_u32_e64 s[4:5], s4, v58
	s_and_saveexec_b64 s[10:11], s[4:5]
	s_cbranch_execz .LBB1_41
; %bb.36:                               ;   in Loop: Header=BB1_34 Depth=3
	s_waitcnt lgkmcnt(0)
	global_load_dwordx2 v[7:8], v45, s[8:9] offset:24 glc
	s_waitcnt vmcnt(0)
	buffer_wbinvl1_vol
	global_load_dwordx2 v[2:3], v45, s[8:9] offset:40
	global_load_dwordx2 v[5:6], v45, s[8:9]
	s_waitcnt vmcnt(1)
	v_and_b32_e32 v2, v2, v7
	v_and_b32_e32 v3, v3, v8
	v_mul_lo_u32 v3, v3, 24
	v_mul_hi_u32 v9, v2, 24
	v_mul_lo_u32 v2, v2, 24
	v_add_u32_e32 v3, v9, v3
	s_waitcnt vmcnt(0)
	v_add_co_u32_e32 v2, vcc, v5, v2
	v_addc_co_u32_e32 v3, vcc, v6, v3, vcc
	global_load_dwordx2 v[5:6], v[2:3], off glc
	s_waitcnt vmcnt(0)
	global_atomic_cmpswap_x2 v[2:3], v45, v[5:8], s[8:9] offset:24 glc
	s_waitcnt vmcnt(0)
	buffer_wbinvl1_vol
	v_cmp_ne_u64_e32 vcc, v[2:3], v[7:8]
	s_and_saveexec_b64 s[12:13], vcc
	s_cbranch_execz .LBB1_40
; %bb.37:                               ;   in Loop: Header=BB1_34 Depth=3
	s_mov_b64 s[14:15], 0
.LBB1_38:                               ;   Parent Loop BB1_13 Depth=1
                                        ;     Parent Loop BB1_20 Depth=2
                                        ;       Parent Loop BB1_34 Depth=3
                                        ; =>      This Inner Loop Header: Depth=4
	s_sleep 1
	global_load_dwordx2 v[5:6], v45, s[8:9] offset:40
	global_load_dwordx2 v[9:10], v45, s[8:9]
	v_mov_b32_e32 v8, v3
	v_mov_b32_e32 v7, v2
	s_waitcnt vmcnt(1)
	v_and_b32_e32 v2, v5, v7
	s_waitcnt vmcnt(0)
	v_mad_u64_u32 v[2:3], s[16:17], v2, 24, v[9:10]
	v_and_b32_e32 v5, v6, v8
	v_mad_u64_u32 v[5:6], s[16:17], v5, 24, v[3:4]
	v_mov_b32_e32 v3, v5
	global_load_dwordx2 v[5:6], v[2:3], off glc
	s_waitcnt vmcnt(0)
	global_atomic_cmpswap_x2 v[2:3], v45, v[5:8], s[8:9] offset:24 glc
	s_waitcnt vmcnt(0)
	buffer_wbinvl1_vol
	v_cmp_eq_u64_e32 vcc, v[2:3], v[7:8]
	s_or_b64 s[14:15], vcc, s[14:15]
	s_andn2_b64 exec, exec, s[14:15]
	s_cbranch_execnz .LBB1_38
; %bb.39:                               ;   in Loop: Header=BB1_34 Depth=3
	s_or_b64 exec, exec, s[14:15]
.LBB1_40:                               ;   in Loop: Header=BB1_34 Depth=3
	s_or_b64 exec, exec, s[12:13]
.LBB1_41:                               ;   in Loop: Header=BB1_34 Depth=3
	s_or_b64 exec, exec, s[10:11]
	s_waitcnt lgkmcnt(0)
	global_load_dwordx2 v[9:10], v45, s[8:9] offset:40
	global_load_dwordx4 v[5:8], v45, s[8:9]
	v_readfirstlane_b32 s11, v3
	v_readfirstlane_b32 s10, v2
	s_mov_b64 s[12:13], exec
	s_waitcnt vmcnt(1)
	v_readfirstlane_b32 s14, v9
	v_readfirstlane_b32 s15, v10
	s_and_b64 s[14:15], s[14:15], s[10:11]
	s_mul_i32 s16, s15, 24
	s_mul_hi_u32 s17, s14, 24
	s_mul_i32 s18, s14, 24
	s_add_i32 s16, s17, s16
	v_mov_b32_e32 v3, s16
	s_waitcnt vmcnt(0)
	v_add_co_u32_e32 v2, vcc, s18, v5
	v_addc_co_u32_e32 v3, vcc, v6, v3, vcc
	s_and_saveexec_b64 s[16:17], s[4:5]
	s_cbranch_execz .LBB1_43
; %bb.42:                               ;   in Loop: Header=BB1_34 Depth=3
	v_mov_b32_e32 v52, s13
	v_mov_b32_e32 v51, s12
	global_store_dwordx4 v[2:3], v[51:54], off offset:8
.LBB1_43:                               ;   in Loop: Header=BB1_34 Depth=3
	s_or_b64 exec, exec, s[16:17]
	s_lshl_b64 s[12:13], s[14:15], 12
	v_mov_b32_e32 v9, s13
	v_add_co_u32_e32 v11, vcc, s12, v7
	v_addc_co_u32_e32 v12, vcc, v8, v9, vcc
	s_mov_b32 s53, s52
	s_mov_b32 s54, s52
	;; [unrolled: 1-line block ×3, first 2 shown]
	v_mov_b32_e32 v7, s52
	v_lshlrev_b32_e32 v28, 6, v58
	v_mov_b32_e32 v44, v45
	v_mov_b32_e32 v46, v45
	v_readfirstlane_b32 s12, v11
	v_readfirstlane_b32 s13, v12
	v_mov_b32_e32 v8, s53
	v_mov_b32_e32 v9, s54
	;; [unrolled: 1-line block ×3, first 2 shown]
	s_nop 1
	global_store_dwordx4 v28, v[43:46], s[12:13]
	global_store_dwordx4 v28, v[7:10], s[12:13] offset:16
	global_store_dwordx4 v28, v[7:10], s[12:13] offset:32
	;; [unrolled: 1-line block ×3, first 2 shown]
	s_and_saveexec_b64 s[12:13], s[4:5]
	s_cbranch_execz .LBB1_51
; %bb.44:                               ;   in Loop: Header=BB1_34 Depth=3
	global_load_dwordx2 v[15:16], v45, s[8:9] offset:32 glc
	global_load_dwordx2 v[7:8], v45, s[8:9] offset:40
	v_mov_b32_e32 v13, s10
	v_mov_b32_e32 v14, s11
	s_waitcnt vmcnt(0)
	v_and_b32_e32 v7, s10, v7
	v_and_b32_e32 v8, s11, v8
	v_mul_lo_u32 v8, v8, 24
	v_mul_hi_u32 v9, v7, 24
	v_mul_lo_u32 v7, v7, 24
	v_add_u32_e32 v8, v9, v8
	v_add_co_u32_e32 v9, vcc, v5, v7
	v_addc_co_u32_e32 v10, vcc, v6, v8, vcc
	global_store_dwordx2 v[9:10], v[15:16], off
	s_waitcnt vmcnt(0)
	global_atomic_cmpswap_x2 v[7:8], v45, v[13:16], s[8:9] offset:32 glc
	s_waitcnt vmcnt(0)
	v_cmp_ne_u64_e32 vcc, v[7:8], v[15:16]
	s_and_saveexec_b64 s[14:15], vcc
	s_cbranch_execz .LBB1_47
; %bb.45:                               ;   in Loop: Header=BB1_34 Depth=3
	s_mov_b64 s[16:17], 0
.LBB1_46:                               ;   Parent Loop BB1_13 Depth=1
                                        ;     Parent Loop BB1_20 Depth=2
                                        ;       Parent Loop BB1_34 Depth=3
                                        ; =>      This Inner Loop Header: Depth=4
	s_sleep 1
	global_store_dwordx2 v[9:10], v[7:8], off
	v_mov_b32_e32 v5, s10
	v_mov_b32_e32 v6, s11
	s_waitcnt vmcnt(0)
	global_atomic_cmpswap_x2 v[5:6], v45, v[5:8], s[8:9] offset:32 glc
	s_waitcnt vmcnt(0)
	v_cmp_eq_u64_e32 vcc, v[5:6], v[7:8]
	v_mov_b32_e32 v8, v6
	s_or_b64 s[16:17], vcc, s[16:17]
	v_mov_b32_e32 v7, v5
	s_andn2_b64 exec, exec, s[16:17]
	s_cbranch_execnz .LBB1_46
.LBB1_47:                               ;   in Loop: Header=BB1_34 Depth=3
	s_or_b64 exec, exec, s[14:15]
	global_load_dwordx2 v[5:6], v45, s[8:9] offset:16
	s_mov_b64 s[16:17], exec
	v_mbcnt_lo_u32_b32 v7, s16, 0
	v_mbcnt_hi_u32_b32 v7, s17, v7
	v_cmp_eq_u32_e32 vcc, 0, v7
	s_and_saveexec_b64 s[14:15], vcc
	s_cbranch_execz .LBB1_49
; %bb.48:                               ;   in Loop: Header=BB1_34 Depth=3
	s_bcnt1_i32_b64 s16, s[16:17]
	v_mov_b32_e32 v44, s16
	s_waitcnt vmcnt(0)
	global_atomic_add_x2 v[5:6], v[44:45], off offset:8
.LBB1_49:                               ;   in Loop: Header=BB1_34 Depth=3
	s_or_b64 exec, exec, s[14:15]
	s_waitcnt vmcnt(0)
	global_load_dwordx2 v[7:8], v[5:6], off offset:16
	s_waitcnt vmcnt(0)
	v_cmp_eq_u64_e32 vcc, 0, v[7:8]
	s_cbranch_vccnz .LBB1_51
; %bb.50:                               ;   in Loop: Header=BB1_34 Depth=3
	global_load_dword v44, v[5:6], off offset:24
	s_waitcnt vmcnt(0)
	v_readfirstlane_b32 s14, v44
	s_and_b32 m0, s14, 0xffffff
	global_store_dwordx2 v[7:8], v[44:45], off
	s_sendmsg sendmsg(MSG_INTERRUPT)
.LBB1_51:                               ;   in Loop: Header=BB1_34 Depth=3
	s_or_b64 exec, exec, s[12:13]
	v_add_co_u32_e32 v5, vcc, v11, v28
	v_addc_co_u32_e32 v6, vcc, 0, v12, vcc
	s_branch .LBB1_55
.LBB1_52:                               ;   in Loop: Header=BB1_55 Depth=4
	s_or_b64 exec, exec, s[12:13]
	v_readfirstlane_b32 s12, v7
	s_cmp_eq_u32 s12, 0
	s_cbranch_scc1 .LBB1_54
; %bb.53:                               ;   in Loop: Header=BB1_55 Depth=4
	s_sleep 1
	s_cbranch_execnz .LBB1_55
	s_branch .LBB1_57
.LBB1_54:                               ;   in Loop: Header=BB1_34 Depth=3
	s_branch .LBB1_57
.LBB1_55:                               ;   Parent Loop BB1_13 Depth=1
                                        ;     Parent Loop BB1_20 Depth=2
                                        ;       Parent Loop BB1_34 Depth=3
                                        ; =>      This Inner Loop Header: Depth=4
	v_mov_b32_e32 v7, 1
	s_and_saveexec_b64 s[12:13], s[4:5]
	s_cbranch_execz .LBB1_52
; %bb.56:                               ;   in Loop: Header=BB1_55 Depth=4
	global_load_dword v7, v[2:3], off offset:20 glc
	s_waitcnt vmcnt(0)
	buffer_wbinvl1_vol
	v_and_b32_e32 v7, 1, v7
	s_branch .LBB1_52
.LBB1_57:                               ;   in Loop: Header=BB1_34 Depth=3
	global_load_dwordx2 v[5:6], v[5:6], off
	s_and_saveexec_b64 s[12:13], s[4:5]
	s_cbranch_execz .LBB1_61
; %bb.58:                               ;   in Loop: Header=BB1_34 Depth=3
	global_load_dwordx2 v[2:3], v45, s[8:9] offset:40
	global_load_dwordx2 v[11:12], v45, s[8:9] offset:24 glc
	global_load_dwordx2 v[7:8], v45, s[8:9]
	s_waitcnt vmcnt(2)
	v_readfirstlane_b32 s14, v2
	v_readfirstlane_b32 s15, v3
	s_add_u32 s16, s14, 1
	s_addc_u32 s17, s15, 0
	s_add_u32 s4, s16, s10
	s_addc_u32 s5, s17, s11
	s_cmp_eq_u64 s[4:5], 0
	s_cselect_b32 s5, s17, s5
	s_cselect_b32 s4, s16, s4
	s_and_b64 s[10:11], s[4:5], s[14:15]
	s_mul_i32 s11, s11, 24
	s_mul_hi_u32 s14, s10, 24
	s_mul_i32 s10, s10, 24
	s_add_i32 s11, s14, s11
	v_mov_b32_e32 v3, s11
	s_waitcnt vmcnt(0)
	v_add_co_u32_e32 v2, vcc, s10, v7
	v_addc_co_u32_e32 v3, vcc, v8, v3, vcc
	v_mov_b32_e32 v9, s4
	global_store_dwordx2 v[2:3], v[11:12], off
	v_mov_b32_e32 v10, s5
	s_waitcnt vmcnt(0)
	global_atomic_cmpswap_x2 v[9:10], v45, v[9:12], s[8:9] offset:24 glc
	s_waitcnt vmcnt(0)
	v_cmp_ne_u64_e32 vcc, v[9:10], v[11:12]
	s_and_b64 exec, exec, vcc
	s_cbranch_execz .LBB1_61
; %bb.59:                               ;   in Loop: Header=BB1_34 Depth=3
	s_mov_b64 s[10:11], 0
.LBB1_60:                               ;   Parent Loop BB1_13 Depth=1
                                        ;     Parent Loop BB1_20 Depth=2
                                        ;       Parent Loop BB1_34 Depth=3
                                        ; =>      This Inner Loop Header: Depth=4
	s_sleep 1
	global_store_dwordx2 v[2:3], v[9:10], off
	v_mov_b32_e32 v7, s4
	v_mov_b32_e32 v8, s5
	s_waitcnt vmcnt(0)
	global_atomic_cmpswap_x2 v[7:8], v45, v[7:10], s[8:9] offset:24 glc
	s_waitcnt vmcnt(0)
	v_cmp_eq_u64_e32 vcc, v[7:8], v[9:10]
	v_mov_b32_e32 v10, v8
	s_or_b64 s[10:11], vcc, s[10:11]
	v_mov_b32_e32 v9, v7
	s_andn2_b64 exec, exec, s[10:11]
	s_cbranch_execnz .LBB1_60
.LBB1_61:                               ;   in Loop: Header=BB1_34 Depth=3
	s_or_b64 exec, exec, s[12:13]
	s_and_b64 vcc, exec, s[70:71]
	s_cbranch_vccz .LBB1_147
; %bb.62:                               ;   in Loop: Header=BB1_34 Depth=3
	s_waitcnt vmcnt(0)
	v_and_b32_e32 v7, -3, v5
	v_mov_b32_e32 v8, v6
	s_mov_b64 s[12:13], 45
	s_getpc_b64 s[10:11]
	s_add_u32 s10, s10, .str.3@rel32@lo+4
	s_addc_u32 s11, s11, .str.3@rel32@hi+12
	s_branch .LBB1_64
.LBB1_63:                               ;   in Loop: Header=BB1_64 Depth=4
	s_or_b64 exec, exec, s[18:19]
	s_sub_u32 s12, s12, s14
	s_subb_u32 s13, s13, s15
	s_add_u32 s10, s10, s14
	s_addc_u32 s11, s11, s15
	s_cmp_lg_u64 s[12:13], 0
	s_cbranch_scc0 .LBB1_146
.LBB1_64:                               ;   Parent Loop BB1_13 Depth=1
                                        ;     Parent Loop BB1_20 Depth=2
                                        ;       Parent Loop BB1_34 Depth=3
                                        ; =>      This Loop Header: Depth=4
                                        ;           Child Loop BB1_67 Depth 5
                                        ;           Child Loop BB1_75 Depth 5
	;; [unrolled: 1-line block ×11, first 2 shown]
	v_cmp_lt_u64_e64 s[4:5], s[12:13], 56
	v_cmp_gt_u64_e64 s[16:17], s[12:13], 7
	s_and_b64 s[4:5], s[4:5], exec
	s_cselect_b32 s15, s13, 0
	s_cselect_b32 s14, s12, 56
	s_add_u32 s4, s10, 8
	s_addc_u32 s5, s11, 0
	s_and_b64 vcc, exec, s[16:17]
	s_cbranch_vccnz .LBB1_68
; %bb.65:                               ;   in Loop: Header=BB1_64 Depth=4
	s_cmp_eq_u64 s[12:13], 0
	s_cbranch_scc1 .LBB1_69
; %bb.66:                               ;   in Loop: Header=BB1_64 Depth=4
	s_waitcnt vmcnt(0)
	v_mov_b32_e32 v9, 0
	s_lshl_b64 s[4:5], s[14:15], 3
	s_mov_b64 s[16:17], 0
	v_mov_b32_e32 v10, 0
	s_mov_b64 s[18:19], s[10:11]
.LBB1_67:                               ;   Parent Loop BB1_13 Depth=1
                                        ;     Parent Loop BB1_20 Depth=2
                                        ;       Parent Loop BB1_34 Depth=3
                                        ;         Parent Loop BB1_64 Depth=4
                                        ; =>        This Inner Loop Header: Depth=5
	global_load_ubyte v2, v45, s[18:19]
	s_waitcnt vmcnt(0)
	v_and_b32_e32 v44, 0xffff, v2
	v_lshlrev_b64 v[2:3], s16, v[44:45]
	s_add_u32 s16, s16, 8
	s_addc_u32 s17, s17, 0
	s_add_u32 s18, s18, 1
	s_addc_u32 s19, s19, 0
	v_or_b32_e32 v9, v2, v9
	s_cmp_lg_u32 s4, s16
	v_or_b32_e32 v10, v3, v10
	s_cbranch_scc1 .LBB1_67
	s_branch .LBB1_70
.LBB1_68:                               ;   in Loop: Header=BB1_64 Depth=4
	s_mov_b32 s21, 0
	s_branch .LBB1_71
.LBB1_69:                               ;   in Loop: Header=BB1_64 Depth=4
	s_waitcnt vmcnt(0)
	v_mov_b32_e32 v9, 0
	v_mov_b32_e32 v10, 0
.LBB1_70:                               ;   in Loop: Header=BB1_64 Depth=4
	s_mov_b64 s[4:5], s[10:11]
	s_mov_b32 s21, 0
	s_cbranch_execnz .LBB1_72
.LBB1_71:                               ;   in Loop: Header=BB1_64 Depth=4
	global_load_dwordx2 v[9:10], v45, s[10:11]
	s_add_i32 s21, s14, -8
.LBB1_72:                               ;   in Loop: Header=BB1_64 Depth=4
	s_add_u32 s16, s4, 8
	s_addc_u32 s17, s5, 0
	s_cmp_gt_u32 s21, 7
	s_cbranch_scc1 .LBB1_76
; %bb.73:                               ;   in Loop: Header=BB1_64 Depth=4
	s_cmp_eq_u32 s21, 0
	s_cbranch_scc1 .LBB1_77
; %bb.74:                               ;   in Loop: Header=BB1_64 Depth=4
	v_mov_b32_e32 v11, 0
	s_mov_b64 s[16:17], 0
	v_mov_b32_e32 v12, 0
	s_mov_b64 s[18:19], 0
.LBB1_75:                               ;   Parent Loop BB1_13 Depth=1
                                        ;     Parent Loop BB1_20 Depth=2
                                        ;       Parent Loop BB1_34 Depth=3
                                        ;         Parent Loop BB1_64 Depth=4
                                        ; =>        This Inner Loop Header: Depth=5
	s_add_u32 s22, s4, s18
	s_addc_u32 s23, s5, s19
	global_load_ubyte v2, v45, s[22:23]
	s_add_u32 s18, s18, 1
	s_addc_u32 s19, s19, 0
	s_waitcnt vmcnt(0)
	v_and_b32_e32 v44, 0xffff, v2
	v_lshlrev_b64 v[2:3], s16, v[44:45]
	s_add_u32 s16, s16, 8
	s_addc_u32 s17, s17, 0
	v_or_b32_e32 v11, v2, v11
	s_cmp_lg_u32 s21, s18
	v_or_b32_e32 v12, v3, v12
	s_cbranch_scc1 .LBB1_75
	s_branch .LBB1_78
.LBB1_76:                               ;   in Loop: Header=BB1_64 Depth=4
                                        ; implicit-def: $vgpr11_vgpr12
	s_mov_b32 s20, 0
	s_branch .LBB1_79
.LBB1_77:                               ;   in Loop: Header=BB1_64 Depth=4
	v_mov_b32_e32 v11, 0
	v_mov_b32_e32 v12, 0
.LBB1_78:                               ;   in Loop: Header=BB1_64 Depth=4
	s_mov_b64 s[16:17], s[4:5]
	s_mov_b32 s20, 0
	s_cbranch_execnz .LBB1_80
.LBB1_79:                               ;   in Loop: Header=BB1_64 Depth=4
	global_load_dwordx2 v[11:12], v45, s[4:5]
	s_add_i32 s20, s21, -8
.LBB1_80:                               ;   in Loop: Header=BB1_64 Depth=4
	s_add_u32 s4, s16, 8
	s_addc_u32 s5, s17, 0
	s_cmp_gt_u32 s20, 7
	s_cbranch_scc1 .LBB1_84
; %bb.81:                               ;   in Loop: Header=BB1_64 Depth=4
	s_cmp_eq_u32 s20, 0
	s_cbranch_scc1 .LBB1_85
; %bb.82:                               ;   in Loop: Header=BB1_64 Depth=4
	v_mov_b32_e32 v13, 0
	s_mov_b64 s[4:5], 0
	v_mov_b32_e32 v14, 0
	s_mov_b64 s[18:19], 0
.LBB1_83:                               ;   Parent Loop BB1_13 Depth=1
                                        ;     Parent Loop BB1_20 Depth=2
                                        ;       Parent Loop BB1_34 Depth=3
                                        ;         Parent Loop BB1_64 Depth=4
                                        ; =>        This Inner Loop Header: Depth=5
	s_add_u32 s22, s16, s18
	s_addc_u32 s23, s17, s19
	global_load_ubyte v2, v45, s[22:23]
	s_add_u32 s18, s18, 1
	s_addc_u32 s19, s19, 0
	s_waitcnt vmcnt(0)
	v_and_b32_e32 v44, 0xffff, v2
	v_lshlrev_b64 v[2:3], s4, v[44:45]
	s_add_u32 s4, s4, 8
	s_addc_u32 s5, s5, 0
	v_or_b32_e32 v13, v2, v13
	s_cmp_lg_u32 s20, s18
	v_or_b32_e32 v14, v3, v14
	s_cbranch_scc1 .LBB1_83
	s_branch .LBB1_86
.LBB1_84:                               ;   in Loop: Header=BB1_64 Depth=4
	s_mov_b32 s21, 0
	s_branch .LBB1_87
.LBB1_85:                               ;   in Loop: Header=BB1_64 Depth=4
	v_mov_b32_e32 v13, 0
	v_mov_b32_e32 v14, 0
.LBB1_86:                               ;   in Loop: Header=BB1_64 Depth=4
	s_mov_b64 s[4:5], s[16:17]
	s_mov_b32 s21, 0
	s_cbranch_execnz .LBB1_88
.LBB1_87:                               ;   in Loop: Header=BB1_64 Depth=4
	global_load_dwordx2 v[13:14], v45, s[16:17]
	s_add_i32 s21, s20, -8
.LBB1_88:                               ;   in Loop: Header=BB1_64 Depth=4
	s_add_u32 s16, s4, 8
	s_addc_u32 s17, s5, 0
	s_cmp_gt_u32 s21, 7
	s_cbranch_scc1 .LBB1_92
; %bb.89:                               ;   in Loop: Header=BB1_64 Depth=4
	s_cmp_eq_u32 s21, 0
	s_cbranch_scc1 .LBB1_93
; %bb.90:                               ;   in Loop: Header=BB1_64 Depth=4
	v_mov_b32_e32 v15, 0
	s_mov_b64 s[16:17], 0
	v_mov_b32_e32 v16, 0
	s_mov_b64 s[18:19], 0
.LBB1_91:                               ;   Parent Loop BB1_13 Depth=1
                                        ;     Parent Loop BB1_20 Depth=2
                                        ;       Parent Loop BB1_34 Depth=3
                                        ;         Parent Loop BB1_64 Depth=4
                                        ; =>        This Inner Loop Header: Depth=5
	s_add_u32 s22, s4, s18
	s_addc_u32 s23, s5, s19
	global_load_ubyte v2, v45, s[22:23]
	s_add_u32 s18, s18, 1
	s_addc_u32 s19, s19, 0
	s_waitcnt vmcnt(0)
	v_and_b32_e32 v44, 0xffff, v2
	v_lshlrev_b64 v[2:3], s16, v[44:45]
	s_add_u32 s16, s16, 8
	s_addc_u32 s17, s17, 0
	v_or_b32_e32 v15, v2, v15
	s_cmp_lg_u32 s21, s18
	v_or_b32_e32 v16, v3, v16
	s_cbranch_scc1 .LBB1_91
	s_branch .LBB1_94
.LBB1_92:                               ;   in Loop: Header=BB1_64 Depth=4
                                        ; implicit-def: $vgpr15_vgpr16
	s_mov_b32 s20, 0
	s_branch .LBB1_95
.LBB1_93:                               ;   in Loop: Header=BB1_64 Depth=4
	v_mov_b32_e32 v15, 0
	v_mov_b32_e32 v16, 0
.LBB1_94:                               ;   in Loop: Header=BB1_64 Depth=4
	s_mov_b64 s[16:17], s[4:5]
	s_mov_b32 s20, 0
	s_cbranch_execnz .LBB1_96
.LBB1_95:                               ;   in Loop: Header=BB1_64 Depth=4
	global_load_dwordx2 v[15:16], v45, s[4:5]
	s_add_i32 s20, s21, -8
.LBB1_96:                               ;   in Loop: Header=BB1_64 Depth=4
	s_add_u32 s4, s16, 8
	s_addc_u32 s5, s17, 0
	s_cmp_gt_u32 s20, 7
	s_cbranch_scc1 .LBB1_100
; %bb.97:                               ;   in Loop: Header=BB1_64 Depth=4
	s_cmp_eq_u32 s20, 0
	s_cbranch_scc1 .LBB1_101
; %bb.98:                               ;   in Loop: Header=BB1_64 Depth=4
	v_mov_b32_e32 v17, 0
	s_mov_b64 s[4:5], 0
	v_mov_b32_e32 v18, 0
	s_mov_b64 s[18:19], 0
.LBB1_99:                               ;   Parent Loop BB1_13 Depth=1
                                        ;     Parent Loop BB1_20 Depth=2
                                        ;       Parent Loop BB1_34 Depth=3
                                        ;         Parent Loop BB1_64 Depth=4
                                        ; =>        This Inner Loop Header: Depth=5
	s_add_u32 s22, s16, s18
	s_addc_u32 s23, s17, s19
	global_load_ubyte v2, v45, s[22:23]
	s_add_u32 s18, s18, 1
	s_addc_u32 s19, s19, 0
	s_waitcnt vmcnt(0)
	v_and_b32_e32 v44, 0xffff, v2
	v_lshlrev_b64 v[2:3], s4, v[44:45]
	s_add_u32 s4, s4, 8
	s_addc_u32 s5, s5, 0
	v_or_b32_e32 v17, v2, v17
	s_cmp_lg_u32 s20, s18
	v_or_b32_e32 v18, v3, v18
	s_cbranch_scc1 .LBB1_99
	s_branch .LBB1_102
.LBB1_100:                              ;   in Loop: Header=BB1_64 Depth=4
	s_mov_b32 s21, 0
	s_branch .LBB1_103
.LBB1_101:                              ;   in Loop: Header=BB1_64 Depth=4
	v_mov_b32_e32 v17, 0
	v_mov_b32_e32 v18, 0
.LBB1_102:                              ;   in Loop: Header=BB1_64 Depth=4
	s_mov_b64 s[4:5], s[16:17]
	s_mov_b32 s21, 0
	s_cbranch_execnz .LBB1_104
.LBB1_103:                              ;   in Loop: Header=BB1_64 Depth=4
	global_load_dwordx2 v[17:18], v45, s[16:17]
	s_add_i32 s21, s20, -8
.LBB1_104:                              ;   in Loop: Header=BB1_64 Depth=4
	s_add_u32 s16, s4, 8
	s_addc_u32 s17, s5, 0
	s_cmp_gt_u32 s21, 7
	s_cbranch_scc1 .LBB1_108
; %bb.105:                              ;   in Loop: Header=BB1_64 Depth=4
	s_cmp_eq_u32 s21, 0
	s_cbranch_scc1 .LBB1_109
; %bb.106:                              ;   in Loop: Header=BB1_64 Depth=4
	v_mov_b32_e32 v19, 0
	s_mov_b64 s[16:17], 0
	v_mov_b32_e32 v20, 0
	s_mov_b64 s[18:19], 0
.LBB1_107:                              ;   Parent Loop BB1_13 Depth=1
                                        ;     Parent Loop BB1_20 Depth=2
                                        ;       Parent Loop BB1_34 Depth=3
                                        ;         Parent Loop BB1_64 Depth=4
                                        ; =>        This Inner Loop Header: Depth=5
	s_add_u32 s22, s4, s18
	s_addc_u32 s23, s5, s19
	global_load_ubyte v2, v45, s[22:23]
	s_add_u32 s18, s18, 1
	s_addc_u32 s19, s19, 0
	s_waitcnt vmcnt(0)
	v_and_b32_e32 v44, 0xffff, v2
	v_lshlrev_b64 v[2:3], s16, v[44:45]
	s_add_u32 s16, s16, 8
	s_addc_u32 s17, s17, 0
	v_or_b32_e32 v19, v2, v19
	s_cmp_lg_u32 s21, s18
	v_or_b32_e32 v20, v3, v20
	s_cbranch_scc1 .LBB1_107
	s_branch .LBB1_110
.LBB1_108:                              ;   in Loop: Header=BB1_64 Depth=4
                                        ; implicit-def: $vgpr19_vgpr20
	s_mov_b32 s20, 0
	s_branch .LBB1_111
.LBB1_109:                              ;   in Loop: Header=BB1_64 Depth=4
	v_mov_b32_e32 v19, 0
	v_mov_b32_e32 v20, 0
.LBB1_110:                              ;   in Loop: Header=BB1_64 Depth=4
	s_mov_b64 s[16:17], s[4:5]
	s_mov_b32 s20, 0
	s_cbranch_execnz .LBB1_112
.LBB1_111:                              ;   in Loop: Header=BB1_64 Depth=4
	global_load_dwordx2 v[19:20], v45, s[4:5]
	s_add_i32 s20, s21, -8
.LBB1_112:                              ;   in Loop: Header=BB1_64 Depth=4
	s_cmp_gt_u32 s20, 7
	s_cbranch_scc1 .LBB1_116
; %bb.113:                              ;   in Loop: Header=BB1_64 Depth=4
	s_cmp_eq_u32 s20, 0
	s_cbranch_scc1 .LBB1_117
; %bb.114:                              ;   in Loop: Header=BB1_64 Depth=4
	v_mov_b32_e32 v21, 0
	s_mov_b64 s[4:5], 0
	v_mov_b32_e32 v22, 0
	s_mov_b64 s[18:19], s[16:17]
.LBB1_115:                              ;   Parent Loop BB1_13 Depth=1
                                        ;     Parent Loop BB1_20 Depth=2
                                        ;       Parent Loop BB1_34 Depth=3
                                        ;         Parent Loop BB1_64 Depth=4
                                        ; =>        This Inner Loop Header: Depth=5
	global_load_ubyte v2, v45, s[18:19]
	s_add_i32 s20, s20, -1
	s_waitcnt vmcnt(0)
	v_and_b32_e32 v44, 0xffff, v2
	v_lshlrev_b64 v[2:3], s4, v[44:45]
	s_add_u32 s4, s4, 8
	s_addc_u32 s5, s5, 0
	s_add_u32 s18, s18, 1
	s_addc_u32 s19, s19, 0
	v_or_b32_e32 v21, v2, v21
	s_cmp_lg_u32 s20, 0
	v_or_b32_e32 v22, v3, v22
	s_cbranch_scc1 .LBB1_115
	s_branch .LBB1_118
.LBB1_116:                              ;   in Loop: Header=BB1_64 Depth=4
	s_branch .LBB1_119
.LBB1_117:                              ;   in Loop: Header=BB1_64 Depth=4
	v_mov_b32_e32 v21, 0
	v_mov_b32_e32 v22, 0
.LBB1_118:                              ;   in Loop: Header=BB1_64 Depth=4
	s_cbranch_execnz .LBB1_120
.LBB1_119:                              ;   in Loop: Header=BB1_64 Depth=4
	global_load_dwordx2 v[21:22], v45, s[16:17]
.LBB1_120:                              ;   in Loop: Header=BB1_64 Depth=4
	v_readfirstlane_b32 s4, v58
	v_mov_b32_e32 v2, 0
	v_mov_b32_e32 v3, 0
	v_cmp_eq_u32_e64 s[4:5], s4, v58
	s_and_saveexec_b64 s[16:17], s[4:5]
	s_cbranch_execz .LBB1_126
; %bb.121:                              ;   in Loop: Header=BB1_64 Depth=4
	global_load_dwordx2 v[25:26], v45, s[8:9] offset:24 glc
	s_waitcnt vmcnt(0)
	buffer_wbinvl1_vol
	global_load_dwordx2 v[2:3], v45, s[8:9] offset:40
	global_load_dwordx2 v[23:24], v45, s[8:9]
	s_waitcnt vmcnt(1)
	v_and_b32_e32 v2, v2, v25
	v_and_b32_e32 v3, v3, v26
	v_mul_lo_u32 v3, v3, 24
	v_mul_hi_u32 v29, v2, 24
	v_mul_lo_u32 v2, v2, 24
	v_add_u32_e32 v3, v29, v3
	s_waitcnt vmcnt(0)
	v_add_co_u32_e32 v2, vcc, v23, v2
	v_addc_co_u32_e32 v3, vcc, v24, v3, vcc
	global_load_dwordx2 v[23:24], v[2:3], off glc
	s_waitcnt vmcnt(0)
	global_atomic_cmpswap_x2 v[2:3], v45, v[23:26], s[8:9] offset:24 glc
	s_waitcnt vmcnt(0)
	buffer_wbinvl1_vol
	v_cmp_ne_u64_e32 vcc, v[2:3], v[25:26]
	s_and_saveexec_b64 s[18:19], vcc
	s_cbranch_execz .LBB1_125
; %bb.122:                              ;   in Loop: Header=BB1_64 Depth=4
	s_mov_b64 s[20:21], 0
.LBB1_123:                              ;   Parent Loop BB1_13 Depth=1
                                        ;     Parent Loop BB1_20 Depth=2
                                        ;       Parent Loop BB1_34 Depth=3
                                        ;         Parent Loop BB1_64 Depth=4
                                        ; =>        This Inner Loop Header: Depth=5
	s_sleep 1
	global_load_dwordx2 v[23:24], v45, s[8:9] offset:40
	global_load_dwordx2 v[29:30], v45, s[8:9]
	v_mov_b32_e32 v26, v3
	v_mov_b32_e32 v25, v2
	s_waitcnt vmcnt(1)
	v_and_b32_e32 v2, v23, v25
	s_waitcnt vmcnt(0)
	v_mad_u64_u32 v[2:3], s[22:23], v2, 24, v[29:30]
	v_and_b32_e32 v23, v24, v26
	v_mad_u64_u32 v[23:24], s[22:23], v23, 24, v[3:4]
	v_mov_b32_e32 v3, v23
	global_load_dwordx2 v[23:24], v[2:3], off glc
	s_waitcnt vmcnt(0)
	global_atomic_cmpswap_x2 v[2:3], v45, v[23:26], s[8:9] offset:24 glc
	s_waitcnt vmcnt(0)
	buffer_wbinvl1_vol
	v_cmp_eq_u64_e32 vcc, v[2:3], v[25:26]
	s_or_b64 s[20:21], vcc, s[20:21]
	s_andn2_b64 exec, exec, s[20:21]
	s_cbranch_execnz .LBB1_123
; %bb.124:                              ;   in Loop: Header=BB1_64 Depth=4
	s_or_b64 exec, exec, s[20:21]
.LBB1_125:                              ;   in Loop: Header=BB1_64 Depth=4
	s_or_b64 exec, exec, s[18:19]
.LBB1_126:                              ;   in Loop: Header=BB1_64 Depth=4
	s_or_b64 exec, exec, s[16:17]
	v_readfirstlane_b32 s17, v3
	v_readfirstlane_b32 s16, v2
	global_load_dwordx4 v[23:26], v45, s[8:9]
	global_load_dwordx2 v[2:3], v45, s[8:9] offset:40
	s_waitcnt vmcnt(0)
	v_readfirstlane_b32 s18, v2
	v_readfirstlane_b32 s19, v3
	s_and_b64 s[18:19], s[18:19], s[16:17]
	s_mul_i32 s20, s19, 24
	s_mul_hi_u32 s21, s18, 24
	s_add_i32 s20, s21, s20
	s_mul_i32 s21, s18, 24
	v_add_co_u32_e32 v2, vcc, s21, v23
	v_mov_b32_e32 v3, s20
	v_addc_co_u32_e32 v3, vcc, v24, v3, vcc
	s_mov_b64 s[20:21], exec
	s_and_saveexec_b64 s[22:23], s[4:5]
	s_cbranch_execz .LBB1_128
; %bb.127:                              ;   in Loop: Header=BB1_64 Depth=4
	v_mov_b32_e32 v52, s21
	v_mov_b32_e32 v51, s20
	global_store_dwordx4 v[2:3], v[51:54], off offset:8
.LBB1_128:                              ;   in Loop: Header=BB1_64 Depth=4
	s_or_b64 exec, exec, s[22:23]
	s_lshl_b64 s[18:19], s[18:19], 12
	v_add_co_u32_e32 v25, vcc, s18, v25
	v_mov_b32_e32 v29, s19
	v_cmp_gt_u64_e64 s[18:19], s[12:13], 56
	v_and_b32_e32 v7, 0xffffff1f, v7
	s_and_b64 s[18:19], s[18:19], exec
	s_cselect_b32 s18, 0, 2
	s_lshl_b32 s19, s14, 2
	s_add_i32 s19, s19, 28
	v_addc_co_u32_e32 v26, vcc, v26, v29, vcc
	s_and_b32 s19, s19, 0x1e0
	v_or_b32_e32 v7, s18, v7
	v_or_b32_e32 v7, s19, v7
	v_readfirstlane_b32 s18, v25
	v_readfirstlane_b32 s19, v26
	s_nop 4
	global_store_dwordx4 v28, v[7:10], s[18:19]
	global_store_dwordx4 v28, v[11:14], s[18:19] offset:16
	global_store_dwordx4 v28, v[15:18], s[18:19] offset:32
	;; [unrolled: 1-line block ×3, first 2 shown]
	s_and_saveexec_b64 s[18:19], s[4:5]
	s_cbranch_execz .LBB1_136
; %bb.129:                              ;   in Loop: Header=BB1_64 Depth=4
	global_load_dwordx2 v[15:16], v45, s[8:9] offset:32 glc
	global_load_dwordx2 v[7:8], v45, s[8:9] offset:40
	v_mov_b32_e32 v13, s16
	v_mov_b32_e32 v14, s17
	s_waitcnt vmcnt(0)
	v_readfirstlane_b32 s20, v7
	v_readfirstlane_b32 s21, v8
	s_and_b64 s[20:21], s[20:21], s[16:17]
	s_mul_i32 s21, s21, 24
	s_mul_hi_u32 s22, s20, 24
	s_mul_i32 s20, s20, 24
	s_add_i32 s21, s22, s21
	v_mov_b32_e32 v7, s21
	v_add_co_u32_e32 v11, vcc, s20, v23
	v_addc_co_u32_e32 v12, vcc, v24, v7, vcc
	global_store_dwordx2 v[11:12], v[15:16], off
	s_waitcnt vmcnt(0)
	global_atomic_cmpswap_x2 v[9:10], v45, v[13:16], s[8:9] offset:32 glc
	s_waitcnt vmcnt(0)
	v_cmp_ne_u64_e32 vcc, v[9:10], v[15:16]
	s_and_saveexec_b64 s[20:21], vcc
	s_cbranch_execz .LBB1_132
; %bb.130:                              ;   in Loop: Header=BB1_64 Depth=4
	s_mov_b64 s[22:23], 0
.LBB1_131:                              ;   Parent Loop BB1_13 Depth=1
                                        ;     Parent Loop BB1_20 Depth=2
                                        ;       Parent Loop BB1_34 Depth=3
                                        ;         Parent Loop BB1_64 Depth=4
                                        ; =>        This Inner Loop Header: Depth=5
	s_sleep 1
	global_store_dwordx2 v[11:12], v[9:10], off
	v_mov_b32_e32 v7, s16
	v_mov_b32_e32 v8, s17
	s_waitcnt vmcnt(0)
	global_atomic_cmpswap_x2 v[7:8], v45, v[7:10], s[8:9] offset:32 glc
	s_waitcnt vmcnt(0)
	v_cmp_eq_u64_e32 vcc, v[7:8], v[9:10]
	v_mov_b32_e32 v10, v8
	s_or_b64 s[22:23], vcc, s[22:23]
	v_mov_b32_e32 v9, v7
	s_andn2_b64 exec, exec, s[22:23]
	s_cbranch_execnz .LBB1_131
.LBB1_132:                              ;   in Loop: Header=BB1_64 Depth=4
	s_or_b64 exec, exec, s[20:21]
	global_load_dwordx2 v[7:8], v45, s[8:9] offset:16
	s_mov_b64 s[22:23], exec
	v_mbcnt_lo_u32_b32 v9, s22, 0
	v_mbcnt_hi_u32_b32 v9, s23, v9
	v_cmp_eq_u32_e32 vcc, 0, v9
	s_and_saveexec_b64 s[20:21], vcc
	s_cbranch_execz .LBB1_134
; %bb.133:                              ;   in Loop: Header=BB1_64 Depth=4
	s_bcnt1_i32_b64 s22, s[22:23]
	v_mov_b32_e32 v44, s22
	s_waitcnt vmcnt(0)
	global_atomic_add_x2 v[7:8], v[44:45], off offset:8
.LBB1_134:                              ;   in Loop: Header=BB1_64 Depth=4
	s_or_b64 exec, exec, s[20:21]
	s_waitcnt vmcnt(0)
	global_load_dwordx2 v[9:10], v[7:8], off offset:16
	s_waitcnt vmcnt(0)
	v_cmp_eq_u64_e32 vcc, 0, v[9:10]
	s_cbranch_vccnz .LBB1_136
; %bb.135:                              ;   in Loop: Header=BB1_64 Depth=4
	global_load_dword v44, v[7:8], off offset:24
	s_waitcnt vmcnt(0)
	v_readfirstlane_b32 s20, v44
	s_and_b32 m0, s20, 0xffffff
	global_store_dwordx2 v[9:10], v[44:45], off
	s_sendmsg sendmsg(MSG_INTERRUPT)
.LBB1_136:                              ;   in Loop: Header=BB1_64 Depth=4
	s_or_b64 exec, exec, s[18:19]
	v_add_co_u32_e32 v7, vcc, v25, v28
	v_addc_co_u32_e32 v8, vcc, 0, v26, vcc
	s_branch .LBB1_140
.LBB1_137:                              ;   in Loop: Header=BB1_140 Depth=5
	s_or_b64 exec, exec, s[18:19]
	v_readfirstlane_b32 s18, v9
	s_cmp_eq_u32 s18, 0
	s_cbranch_scc1 .LBB1_139
; %bb.138:                              ;   in Loop: Header=BB1_140 Depth=5
	s_sleep 1
	s_cbranch_execnz .LBB1_140
	s_branch .LBB1_142
.LBB1_139:                              ;   in Loop: Header=BB1_64 Depth=4
	s_branch .LBB1_142
.LBB1_140:                              ;   Parent Loop BB1_13 Depth=1
                                        ;     Parent Loop BB1_20 Depth=2
                                        ;       Parent Loop BB1_34 Depth=3
                                        ;         Parent Loop BB1_64 Depth=4
                                        ; =>        This Inner Loop Header: Depth=5
	v_mov_b32_e32 v9, 1
	s_and_saveexec_b64 s[18:19], s[4:5]
	s_cbranch_execz .LBB1_137
; %bb.141:                              ;   in Loop: Header=BB1_140 Depth=5
	global_load_dword v9, v[2:3], off offset:20 glc
	s_waitcnt vmcnt(0)
	buffer_wbinvl1_vol
	v_and_b32_e32 v9, 1, v9
	s_branch .LBB1_137
.LBB1_142:                              ;   in Loop: Header=BB1_64 Depth=4
	global_load_dwordx4 v[7:10], v[7:8], off
	s_and_saveexec_b64 s[18:19], s[4:5]
	s_cbranch_execz .LBB1_63
; %bb.143:                              ;   in Loop: Header=BB1_64 Depth=4
	global_load_dwordx2 v[2:3], v45, s[8:9] offset:40
	global_load_dwordx2 v[13:14], v45, s[8:9] offset:24 glc
	global_load_dwordx2 v[9:10], v45, s[8:9]
	s_waitcnt vmcnt(2)
	v_readfirstlane_b32 s20, v2
	v_readfirstlane_b32 s21, v3
	s_add_u32 s22, s20, 1
	s_addc_u32 s23, s21, 0
	s_add_u32 s4, s22, s16
	s_addc_u32 s5, s23, s17
	s_cmp_eq_u64 s[4:5], 0
	s_cselect_b32 s5, s23, s5
	s_cselect_b32 s4, s22, s4
	s_and_b64 s[16:17], s[4:5], s[20:21]
	s_mul_i32 s17, s17, 24
	s_mul_hi_u32 s20, s16, 24
	s_mul_i32 s16, s16, 24
	s_add_i32 s17, s20, s17
	v_mov_b32_e32 v3, s17
	s_waitcnt vmcnt(0)
	v_add_co_u32_e32 v2, vcc, s16, v9
	v_addc_co_u32_e32 v3, vcc, v10, v3, vcc
	v_mov_b32_e32 v11, s4
	global_store_dwordx2 v[2:3], v[13:14], off
	v_mov_b32_e32 v12, s5
	s_waitcnt vmcnt(0)
	global_atomic_cmpswap_x2 v[11:12], v45, v[11:14], s[8:9] offset:24 glc
	s_waitcnt vmcnt(0)
	v_cmp_ne_u64_e32 vcc, v[11:12], v[13:14]
	s_and_b64 exec, exec, vcc
	s_cbranch_execz .LBB1_63
; %bb.144:                              ;   in Loop: Header=BB1_64 Depth=4
	s_mov_b64 s[16:17], 0
.LBB1_145:                              ;   Parent Loop BB1_13 Depth=1
                                        ;     Parent Loop BB1_20 Depth=2
                                        ;       Parent Loop BB1_34 Depth=3
                                        ;         Parent Loop BB1_64 Depth=4
                                        ; =>        This Inner Loop Header: Depth=5
	s_sleep 1
	global_store_dwordx2 v[2:3], v[11:12], off
	v_mov_b32_e32 v9, s4
	v_mov_b32_e32 v10, s5
	s_waitcnt vmcnt(0)
	global_atomic_cmpswap_x2 v[9:10], v45, v[9:12], s[8:9] offset:24 glc
	s_waitcnt vmcnt(0)
	v_cmp_eq_u64_e32 vcc, v[9:10], v[11:12]
	v_mov_b32_e32 v12, v10
	s_or_b64 s[16:17], vcc, s[16:17]
	v_mov_b32_e32 v11, v9
	s_andn2_b64 exec, exec, s[16:17]
	s_cbranch_execnz .LBB1_145
	s_branch .LBB1_63
.LBB1_146:                              ;   in Loop: Header=BB1_34 Depth=3
	s_branch .LBB1_174
.LBB1_147:                              ;   in Loop: Header=BB1_34 Depth=3
	s_cbranch_execz .LBB1_174
; %bb.148:                              ;   in Loop: Header=BB1_34 Depth=3
	v_readfirstlane_b32 s4, v58
	v_mov_b32_e32 v2, 0
	v_mov_b32_e32 v3, 0
	v_cmp_eq_u32_e64 s[4:5], s4, v58
	s_and_saveexec_b64 s[10:11], s[4:5]
	s_cbranch_execz .LBB1_154
; %bb.149:                              ;   in Loop: Header=BB1_34 Depth=3
	global_load_dwordx2 v[9:10], v45, s[8:9] offset:24 glc
	s_waitcnt vmcnt(0)
	buffer_wbinvl1_vol
	global_load_dwordx2 v[2:3], v45, s[8:9] offset:40
	global_load_dwordx2 v[7:8], v45, s[8:9]
	s_waitcnt vmcnt(1)
	v_and_b32_e32 v2, v2, v9
	v_and_b32_e32 v3, v3, v10
	v_mul_lo_u32 v3, v3, 24
	v_mul_hi_u32 v11, v2, 24
	v_mul_lo_u32 v2, v2, 24
	v_add_u32_e32 v3, v11, v3
	s_waitcnt vmcnt(0)
	v_add_co_u32_e32 v2, vcc, v7, v2
	v_addc_co_u32_e32 v3, vcc, v8, v3, vcc
	global_load_dwordx2 v[7:8], v[2:3], off glc
	s_waitcnt vmcnt(0)
	global_atomic_cmpswap_x2 v[2:3], v45, v[7:10], s[8:9] offset:24 glc
	s_waitcnt vmcnt(0)
	buffer_wbinvl1_vol
	v_cmp_ne_u64_e32 vcc, v[2:3], v[9:10]
	s_and_saveexec_b64 s[12:13], vcc
	s_cbranch_execz .LBB1_153
; %bb.150:                              ;   in Loop: Header=BB1_34 Depth=3
	s_mov_b64 s[14:15], 0
.LBB1_151:                              ;   Parent Loop BB1_13 Depth=1
                                        ;     Parent Loop BB1_20 Depth=2
                                        ;       Parent Loop BB1_34 Depth=3
                                        ; =>      This Inner Loop Header: Depth=4
	s_sleep 1
	global_load_dwordx2 v[7:8], v45, s[8:9] offset:40
	global_load_dwordx2 v[11:12], v45, s[8:9]
	v_mov_b32_e32 v10, v3
	v_mov_b32_e32 v9, v2
	s_waitcnt vmcnt(1)
	v_and_b32_e32 v2, v7, v9
	s_waitcnt vmcnt(0)
	v_mad_u64_u32 v[2:3], s[16:17], v2, 24, v[11:12]
	v_and_b32_e32 v7, v8, v10
	v_mad_u64_u32 v[7:8], s[16:17], v7, 24, v[3:4]
	v_mov_b32_e32 v3, v7
	global_load_dwordx2 v[7:8], v[2:3], off glc
	s_waitcnt vmcnt(0)
	global_atomic_cmpswap_x2 v[2:3], v45, v[7:10], s[8:9] offset:24 glc
	s_waitcnt vmcnt(0)
	buffer_wbinvl1_vol
	v_cmp_eq_u64_e32 vcc, v[2:3], v[9:10]
	s_or_b64 s[14:15], vcc, s[14:15]
	s_andn2_b64 exec, exec, s[14:15]
	s_cbranch_execnz .LBB1_151
; %bb.152:                              ;   in Loop: Header=BB1_34 Depth=3
	s_or_b64 exec, exec, s[14:15]
.LBB1_153:                              ;   in Loop: Header=BB1_34 Depth=3
	s_or_b64 exec, exec, s[12:13]
.LBB1_154:                              ;   in Loop: Header=BB1_34 Depth=3
	s_or_b64 exec, exec, s[10:11]
	v_readfirstlane_b32 s11, v3
	v_readfirstlane_b32 s10, v2
	global_load_dwordx4 v[9:12], v45, s[8:9]
	global_load_dwordx2 v[2:3], v45, s[8:9] offset:40
	s_waitcnt vmcnt(0)
	v_readfirstlane_b32 s12, v2
	v_readfirstlane_b32 s13, v3
	s_and_b64 s[12:13], s[12:13], s[10:11]
	s_mul_i32 s14, s13, 24
	s_mul_hi_u32 s15, s12, 24
	s_add_i32 s14, s15, s14
	s_mul_i32 s15, s12, 24
	v_add_co_u32_e32 v2, vcc, s15, v9
	v_mov_b32_e32 v3, s14
	v_addc_co_u32_e32 v3, vcc, v10, v3, vcc
	s_mov_b64 s[14:15], exec
	s_and_saveexec_b64 s[16:17], s[4:5]
	s_cbranch_execz .LBB1_156
; %bb.155:                              ;   in Loop: Header=BB1_34 Depth=3
	v_mov_b32_e32 v52, s15
	v_mov_b32_e32 v51, s14
	global_store_dwordx4 v[2:3], v[51:54], off offset:8
.LBB1_156:                              ;   in Loop: Header=BB1_34 Depth=3
	s_or_b64 exec, exec, s[16:17]
	s_lshl_b64 s[12:13], s[12:13], 12
	v_mov_b32_e32 v7, s13
	v_add_co_u32_e32 v11, vcc, s12, v11
	v_addc_co_u32_e32 v12, vcc, v12, v7, vcc
	v_and_or_b32 v5, v5, s88, 34
	v_mov_b32_e32 v7, v45
	v_mov_b32_e32 v8, v45
	v_readfirstlane_b32 s12, v11
	v_readfirstlane_b32 s13, v12
	s_mov_b32 s53, s52
	s_mov_b32 s54, s52
	;; [unrolled: 1-line block ×3, first 2 shown]
	s_nop 1
	global_store_dwordx4 v28, v[5:8], s[12:13]
	s_nop 0
	v_mov_b32_e32 v5, s52
	v_mov_b32_e32 v6, s53
	;; [unrolled: 1-line block ×4, first 2 shown]
	global_store_dwordx4 v28, v[5:8], s[12:13] offset:16
	global_store_dwordx4 v28, v[5:8], s[12:13] offset:32
	;; [unrolled: 1-line block ×3, first 2 shown]
	s_and_saveexec_b64 s[12:13], s[4:5]
	s_cbranch_execz .LBB1_164
; %bb.157:                              ;   in Loop: Header=BB1_34 Depth=3
	global_load_dwordx2 v[13:14], v45, s[8:9] offset:32 glc
	global_load_dwordx2 v[5:6], v45, s[8:9] offset:40
	v_mov_b32_e32 v11, s10
	v_mov_b32_e32 v12, s11
	s_waitcnt vmcnt(0)
	v_readfirstlane_b32 s14, v5
	v_readfirstlane_b32 s15, v6
	s_and_b64 s[14:15], s[14:15], s[10:11]
	s_mul_i32 s15, s15, 24
	s_mul_hi_u32 s16, s14, 24
	s_mul_i32 s14, s14, 24
	s_add_i32 s15, s16, s15
	v_mov_b32_e32 v5, s15
	v_add_co_u32_e32 v9, vcc, s14, v9
	v_addc_co_u32_e32 v10, vcc, v10, v5, vcc
	global_store_dwordx2 v[9:10], v[13:14], off
	s_waitcnt vmcnt(0)
	global_atomic_cmpswap_x2 v[7:8], v45, v[11:14], s[8:9] offset:32 glc
	s_waitcnt vmcnt(0)
	v_cmp_ne_u64_e32 vcc, v[7:8], v[13:14]
	s_and_saveexec_b64 s[14:15], vcc
	s_cbranch_execz .LBB1_160
; %bb.158:                              ;   in Loop: Header=BB1_34 Depth=3
	s_mov_b64 s[16:17], 0
.LBB1_159:                              ;   Parent Loop BB1_13 Depth=1
                                        ;     Parent Loop BB1_20 Depth=2
                                        ;       Parent Loop BB1_34 Depth=3
                                        ; =>      This Inner Loop Header: Depth=4
	s_sleep 1
	global_store_dwordx2 v[9:10], v[7:8], off
	v_mov_b32_e32 v5, s10
	v_mov_b32_e32 v6, s11
	s_waitcnt vmcnt(0)
	global_atomic_cmpswap_x2 v[5:6], v45, v[5:8], s[8:9] offset:32 glc
	s_waitcnt vmcnt(0)
	v_cmp_eq_u64_e32 vcc, v[5:6], v[7:8]
	v_mov_b32_e32 v8, v6
	s_or_b64 s[16:17], vcc, s[16:17]
	v_mov_b32_e32 v7, v5
	s_andn2_b64 exec, exec, s[16:17]
	s_cbranch_execnz .LBB1_159
.LBB1_160:                              ;   in Loop: Header=BB1_34 Depth=3
	s_or_b64 exec, exec, s[14:15]
	global_load_dwordx2 v[5:6], v45, s[8:9] offset:16
	s_mov_b64 s[16:17], exec
	v_mbcnt_lo_u32_b32 v7, s16, 0
	v_mbcnt_hi_u32_b32 v7, s17, v7
	v_cmp_eq_u32_e32 vcc, 0, v7
	s_and_saveexec_b64 s[14:15], vcc
	s_cbranch_execz .LBB1_162
; %bb.161:                              ;   in Loop: Header=BB1_34 Depth=3
	s_bcnt1_i32_b64 s16, s[16:17]
	v_mov_b32_e32 v44, s16
	s_waitcnt vmcnt(0)
	global_atomic_add_x2 v[5:6], v[44:45], off offset:8
.LBB1_162:                              ;   in Loop: Header=BB1_34 Depth=3
	s_or_b64 exec, exec, s[14:15]
	s_waitcnt vmcnt(0)
	global_load_dwordx2 v[7:8], v[5:6], off offset:16
	s_waitcnt vmcnt(0)
	v_cmp_eq_u64_e32 vcc, 0, v[7:8]
	s_cbranch_vccnz .LBB1_164
; %bb.163:                              ;   in Loop: Header=BB1_34 Depth=3
	global_load_dword v44, v[5:6], off offset:24
	s_waitcnt vmcnt(0)
	v_readfirstlane_b32 s14, v44
	s_and_b32 m0, s14, 0xffffff
	global_store_dwordx2 v[7:8], v[44:45], off
	s_sendmsg sendmsg(MSG_INTERRUPT)
.LBB1_164:                              ;   in Loop: Header=BB1_34 Depth=3
	s_or_b64 exec, exec, s[12:13]
	s_branch .LBB1_168
.LBB1_165:                              ;   in Loop: Header=BB1_168 Depth=4
	s_or_b64 exec, exec, s[12:13]
	v_readfirstlane_b32 s12, v5
	s_cmp_eq_u32 s12, 0
	s_cbranch_scc1 .LBB1_167
; %bb.166:                              ;   in Loop: Header=BB1_168 Depth=4
	s_sleep 1
	s_cbranch_execnz .LBB1_168
	s_branch .LBB1_170
.LBB1_167:                              ;   in Loop: Header=BB1_34 Depth=3
	s_branch .LBB1_170
.LBB1_168:                              ;   Parent Loop BB1_13 Depth=1
                                        ;     Parent Loop BB1_20 Depth=2
                                        ;       Parent Loop BB1_34 Depth=3
                                        ; =>      This Inner Loop Header: Depth=4
	v_mov_b32_e32 v5, 1
	s_and_saveexec_b64 s[12:13], s[4:5]
	s_cbranch_execz .LBB1_165
; %bb.169:                              ;   in Loop: Header=BB1_168 Depth=4
	global_load_dword v5, v[2:3], off offset:20 glc
	s_waitcnt vmcnt(0)
	buffer_wbinvl1_vol
	v_and_b32_e32 v5, 1, v5
	s_branch .LBB1_165
.LBB1_170:                              ;   in Loop: Header=BB1_34 Depth=3
	s_and_b64 exec, exec, s[4:5]
	s_cbranch_execz .LBB1_174
; %bb.171:                              ;   in Loop: Header=BB1_34 Depth=3
	global_load_dwordx2 v[2:3], v45, s[8:9] offset:40
	global_load_dwordx2 v[9:10], v45, s[8:9] offset:24 glc
	global_load_dwordx2 v[5:6], v45, s[8:9]
	s_waitcnt vmcnt(2)
	v_readfirstlane_b32 s12, v2
	v_readfirstlane_b32 s13, v3
	s_add_u32 s14, s12, 1
	s_addc_u32 s15, s13, 0
	s_add_u32 s4, s14, s10
	s_addc_u32 s5, s15, s11
	s_cmp_eq_u64 s[4:5], 0
	s_cselect_b32 s5, s15, s5
	s_cselect_b32 s4, s14, s4
	s_and_b64 s[10:11], s[4:5], s[12:13]
	s_mul_i32 s11, s11, 24
	s_mul_hi_u32 s12, s10, 24
	s_mul_i32 s10, s10, 24
	s_add_i32 s11, s12, s11
	v_mov_b32_e32 v3, s11
	s_waitcnt vmcnt(0)
	v_add_co_u32_e32 v2, vcc, s10, v5
	v_addc_co_u32_e32 v3, vcc, v6, v3, vcc
	v_mov_b32_e32 v7, s4
	global_store_dwordx2 v[2:3], v[9:10], off
	v_mov_b32_e32 v8, s5
	s_waitcnt vmcnt(0)
	global_atomic_cmpswap_x2 v[7:8], v45, v[7:10], s[8:9] offset:24 glc
	s_waitcnt vmcnt(0)
	v_cmp_ne_u64_e32 vcc, v[7:8], v[9:10]
	s_and_b64 exec, exec, vcc
	s_cbranch_execz .LBB1_174
; %bb.172:                              ;   in Loop: Header=BB1_34 Depth=3
	s_mov_b64 s[10:11], 0
.LBB1_173:                              ;   Parent Loop BB1_13 Depth=1
                                        ;     Parent Loop BB1_20 Depth=2
                                        ;       Parent Loop BB1_34 Depth=3
                                        ; =>      This Inner Loop Header: Depth=4
	s_sleep 1
	global_store_dwordx2 v[2:3], v[7:8], off
	v_mov_b32_e32 v5, s4
	v_mov_b32_e32 v6, s5
	s_waitcnt vmcnt(0)
	global_atomic_cmpswap_x2 v[5:6], v45, v[5:8], s[8:9] offset:24 glc
	s_waitcnt vmcnt(0)
	v_cmp_eq_u64_e32 vcc, v[5:6], v[7:8]
	v_mov_b32_e32 v8, v6
	s_or_b64 s[10:11], vcc, s[10:11]
	v_mov_b32_e32 v7, v5
	s_andn2_b64 exec, exec, s[10:11]
	s_cbranch_execnz .LBB1_173
.LBB1_174:                              ;   in Loop: Header=BB1_34 Depth=3
	s_or_b64 exec, exec, s[6:7]
	v_add_co_u32_e32 v2, vcc, v55, v27
	v_addc_co_u32_e32 v3, vcc, 0, v56, vcc
	global_load_ubyte v5, v[2:3], off
	s_waitcnt vmcnt(0)
	v_cmp_ne_u16_e32 vcc, s89, v5
	s_and_saveexec_b64 s[4:5], vcc
	s_cbranch_execz .LBB1_33
; %bb.175:                              ;   in Loop: Header=BB1_34 Depth=3
	v_add_co_u32_e32 v2, vcc, v59, v27
	v_addc_co_u32_e32 v3, vcc, 0, v57, vcc
	global_load_sbyte v2, v[2:3], off
	s_waitcnt vmcnt(0)
	v_subrev_u32_e32 v6, s33, v2
	v_cmp_lt_i32_e32 vcc, 9, v6
	s_and_saveexec_b64 s[6:7], vcc
	s_cbranch_execz .LBB1_180
; %bb.176:                              ;   in Loop: Header=BB1_34 Depth=3
	v_cmp_lt_i16_e32 vcc, s90, v5
	s_mov_b64 s[8:9], 0
                                        ; implicit-def: $vgpr2_vgpr3
	s_and_saveexec_b64 s[10:11], vcc
	s_xor_b64 s[10:11], exec, s[10:11]
	s_cbranch_execnz .LBB1_184
; %bb.177:                              ;   in Loop: Header=BB1_34 Depth=3
	s_andn2_saveexec_b64 s[10:11], s[10:11]
	s_cbranch_execnz .LBB1_193
.LBB1_178:                              ;   in Loop: Header=BB1_34 Depth=3
	s_or_b64 exec, exec, s[10:11]
	s_and_b64 exec, exec, s[8:9]
	s_cbranch_execz .LBB1_180
.LBB1_179:                              ;   in Loop: Header=BB1_34 Depth=3
	flat_atomic_add v[2:3], v54
.LBB1_180:                              ;   in Loop: Header=BB1_34 Depth=3
	s_or_b64 exec, exec, s[6:7]
	v_cmp_lt_i32_e32 vcc, 19, v6
	s_and_b64 exec, exec, vcc
	s_cbranch_execz .LBB1_33
; %bb.181:                              ;   in Loop: Header=BB1_34 Depth=3
	v_cmp_lt_i16_e32 vcc, s90, v5
	s_mov_b64 s[6:7], 0
                                        ; implicit-def: $vgpr2_vgpr3
	s_and_saveexec_b64 s[8:9], vcc
	s_xor_b64 s[8:9], exec, s[8:9]
	s_cbranch_execnz .LBB1_200
; %bb.182:                              ;   in Loop: Header=BB1_34 Depth=3
	s_andn2_saveexec_b64 s[8:9], s[8:9]
	s_cbranch_execnz .LBB1_209
.LBB1_183:                              ;   in Loop: Header=BB1_34 Depth=3
	s_or_b64 exec, exec, s[8:9]
	s_and_b64 exec, exec, s[6:7]
	s_cbranch_execz .LBB1_33
	s_branch .LBB1_216
.LBB1_184:                              ;   in Loop: Header=BB1_34 Depth=3
	v_cmp_lt_i16_e32 vcc, s91, v5
                                        ; implicit-def: $vgpr2_vgpr3
	s_and_saveexec_b64 s[12:13], vcc
	s_xor_b64 s[12:13], exec, s[12:13]
	s_cbranch_execz .LBB1_188
; %bb.185:                              ;   in Loop: Header=BB1_34 Depth=3
	v_cmp_eq_u16_e32 vcc, s92, v5
                                        ; implicit-def: $vgpr2_vgpr3
	s_and_saveexec_b64 s[14:15], vcc
; %bb.186:                              ;   in Loop: Header=BB1_34 Depth=3
	v_add_co_u32_e32 v2, vcc, 44, v0
	s_mov_b64 s[8:9], exec
	v_addc_co_u32_e32 v3, vcc, 0, v1, vcc
; %bb.187:                              ;   in Loop: Header=BB1_34 Depth=3
	s_or_b64 exec, exec, s[14:15]
	s_and_b64 s[8:9], s[8:9], exec
.LBB1_188:                              ;   in Loop: Header=BB1_34 Depth=3
	s_andn2_saveexec_b64 s[12:13], s[12:13]
	s_cbranch_execz .LBB1_192
; %bb.189:                              ;   in Loop: Header=BB1_34 Depth=3
	v_cmp_eq_u16_e32 vcc, s93, v5
	s_mov_b64 s[14:15], s[8:9]
                                        ; implicit-def: $vgpr2_vgpr3
	s_and_saveexec_b64 s[16:17], vcc
; %bb.190:                              ;   in Loop: Header=BB1_34 Depth=3
	v_add_co_u32_e32 v2, vcc, 40, v0
	v_addc_co_u32_e32 v3, vcc, 0, v1, vcc
	s_or_b64 s[14:15], s[8:9], exec
; %bb.191:                              ;   in Loop: Header=BB1_34 Depth=3
	s_or_b64 exec, exec, s[16:17]
	s_andn2_b64 s[8:9], s[8:9], exec
	s_and_b64 s[14:15], s[14:15], exec
	s_or_b64 s[8:9], s[8:9], s[14:15]
.LBB1_192:                              ;   in Loop: Header=BB1_34 Depth=3
	s_or_b64 exec, exec, s[12:13]
	s_and_b64 s[8:9], s[8:9], exec
	s_andn2_saveexec_b64 s[10:11], s[10:11]
	s_cbranch_execz .LBB1_178
.LBB1_193:                              ;   in Loop: Header=BB1_34 Depth=3
	v_cmp_lt_i16_e32 vcc, s94, v5
	s_mov_b64 s[12:13], s[8:9]
                                        ; implicit-def: $vgpr2_vgpr3
	s_and_saveexec_b64 s[14:15], vcc
	s_xor_b64 s[14:15], exec, s[14:15]
	s_cbranch_execz .LBB1_197
; %bb.194:                              ;   in Loop: Header=BB1_34 Depth=3
	v_cmp_eq_u16_e32 vcc, s95, v5
	s_mov_b64 s[12:13], s[8:9]
                                        ; implicit-def: $vgpr2_vgpr3
	s_and_saveexec_b64 s[16:17], vcc
; %bb.195:                              ;   in Loop: Header=BB1_34 Depth=3
	v_add_co_u32_e32 v2, vcc, 36, v0
	v_addc_co_u32_e32 v3, vcc, 0, v1, vcc
	s_or_b64 s[12:13], s[8:9], exec
; %bb.196:                              ;   in Loop: Header=BB1_34 Depth=3
	s_or_b64 exec, exec, s[16:17]
	s_andn2_b64 s[16:17], s[8:9], exec
	s_and_b64 s[12:13], s[12:13], exec
	s_or_b64 s[12:13], s[16:17], s[12:13]
.LBB1_197:                              ;   in Loop: Header=BB1_34 Depth=3
	s_andn2_saveexec_b64 s[14:15], s[14:15]
; %bb.198:                              ;   in Loop: Header=BB1_34 Depth=3
	v_add_co_u32_e32 v2, vcc, 32, v0
	v_addc_co_u32_e32 v3, vcc, 0, v1, vcc
	v_cmp_eq_u16_e32 vcc, s96, v5
	s_andn2_b64 s[12:13], s[12:13], exec
	s_and_b64 s[16:17], vcc, exec
	s_or_b64 s[12:13], s[12:13], s[16:17]
; %bb.199:                              ;   in Loop: Header=BB1_34 Depth=3
	s_or_b64 exec, exec, s[14:15]
	s_andn2_b64 s[8:9], s[8:9], exec
	s_and_b64 s[12:13], s[12:13], exec
	s_or_b64 s[8:9], s[8:9], s[12:13]
	s_or_b64 exec, exec, s[10:11]
	s_and_b64 exec, exec, s[8:9]
	s_cbranch_execnz .LBB1_179
	s_branch .LBB1_180
.LBB1_200:                              ;   in Loop: Header=BB1_34 Depth=3
	v_cmp_lt_i16_e32 vcc, s91, v5
                                        ; implicit-def: $vgpr2_vgpr3
	s_and_saveexec_b64 s[10:11], vcc
	s_xor_b64 s[10:11], exec, s[10:11]
	s_cbranch_execz .LBB1_204
; %bb.201:                              ;   in Loop: Header=BB1_34 Depth=3
	v_cmp_eq_u16_e32 vcc, s92, v5
                                        ; implicit-def: $vgpr2_vgpr3
	s_and_saveexec_b64 s[12:13], vcc
; %bb.202:                              ;   in Loop: Header=BB1_34 Depth=3
	v_add_co_u32_e32 v2, vcc, 28, v0
	s_mov_b64 s[6:7], exec
	v_addc_co_u32_e32 v3, vcc, 0, v1, vcc
; %bb.203:                              ;   in Loop: Header=BB1_34 Depth=3
	s_or_b64 exec, exec, s[12:13]
	s_and_b64 s[6:7], s[6:7], exec
                                        ; implicit-def: $vgpr5
                                        ; implicit-def: $vgpr0
                                        ; implicit-def: $vgpr1
.LBB1_204:                              ;   in Loop: Header=BB1_34 Depth=3
	s_andn2_saveexec_b64 s[10:11], s[10:11]
	s_cbranch_execz .LBB1_208
; %bb.205:                              ;   in Loop: Header=BB1_34 Depth=3
	v_cmp_eq_u16_e32 vcc, s93, v5
	s_mov_b64 s[12:13], s[6:7]
                                        ; implicit-def: $vgpr2_vgpr3
	s_and_saveexec_b64 s[14:15], vcc
; %bb.206:                              ;   in Loop: Header=BB1_34 Depth=3
	v_add_co_u32_e32 v2, vcc, 24, v0
	v_addc_co_u32_e32 v3, vcc, 0, v1, vcc
	s_or_b64 s[12:13], s[6:7], exec
; %bb.207:                              ;   in Loop: Header=BB1_34 Depth=3
	s_or_b64 exec, exec, s[14:15]
	s_andn2_b64 s[6:7], s[6:7], exec
	s_and_b64 s[12:13], s[12:13], exec
	s_or_b64 s[6:7], s[6:7], s[12:13]
.LBB1_208:                              ;   in Loop: Header=BB1_34 Depth=3
	s_or_b64 exec, exec, s[10:11]
	s_and_b64 s[6:7], s[6:7], exec
                                        ; implicit-def: $vgpr0
                                        ; implicit-def: $vgpr1
                                        ; implicit-def: $vgpr5
	s_andn2_saveexec_b64 s[8:9], s[8:9]
	s_cbranch_execz .LBB1_183
.LBB1_209:                              ;   in Loop: Header=BB1_34 Depth=3
	v_cmp_lt_i16_e32 vcc, s94, v5
	s_mov_b64 s[10:11], s[6:7]
                                        ; implicit-def: $vgpr2_vgpr3
	s_and_saveexec_b64 s[12:13], vcc
	s_xor_b64 s[12:13], exec, s[12:13]
	s_cbranch_execz .LBB1_213
; %bb.210:                              ;   in Loop: Header=BB1_34 Depth=3
	v_cmp_eq_u16_e32 vcc, s95, v5
	s_mov_b64 s[10:11], s[6:7]
                                        ; implicit-def: $vgpr2_vgpr3
	s_and_saveexec_b64 s[14:15], vcc
; %bb.211:                              ;   in Loop: Header=BB1_34 Depth=3
	v_add_co_u32_e32 v2, vcc, 20, v0
	v_addc_co_u32_e32 v3, vcc, 0, v1, vcc
	s_or_b64 s[10:11], s[6:7], exec
; %bb.212:                              ;   in Loop: Header=BB1_34 Depth=3
	s_or_b64 exec, exec, s[14:15]
	s_andn2_b64 s[14:15], s[6:7], exec
	s_and_b64 s[10:11], s[10:11], exec
	s_or_b64 s[10:11], s[14:15], s[10:11]
                                        ; implicit-def: $vgpr0
                                        ; implicit-def: $vgpr1
                                        ; implicit-def: $vgpr5
.LBB1_213:                              ;   in Loop: Header=BB1_34 Depth=3
	s_andn2_saveexec_b64 s[12:13], s[12:13]
; %bb.214:                              ;   in Loop: Header=BB1_34 Depth=3
	v_add_co_u32_e32 v2, vcc, 16, v0
	v_addc_co_u32_e32 v3, vcc, 0, v1, vcc
	v_cmp_eq_u16_e32 vcc, s96, v5
	s_andn2_b64 s[10:11], s[10:11], exec
	s_and_b64 s[14:15], vcc, exec
	s_or_b64 s[10:11], s[10:11], s[14:15]
; %bb.215:                              ;   in Loop: Header=BB1_34 Depth=3
	s_or_b64 exec, exec, s[12:13]
	s_andn2_b64 s[6:7], s[6:7], exec
	s_and_b64 s[10:11], s[10:11], exec
	s_or_b64 s[6:7], s[6:7], s[10:11]
	s_or_b64 exec, exec, s[8:9]
	s_and_b64 exec, exec, s[6:7]
	s_cbranch_execz .LBB1_33
.LBB1_216:                              ;   in Loop: Header=BB1_34 Depth=3
	flat_atomic_add v[2:3], v54
	s_branch .LBB1_33
.LBB1_217:                              ;   in Loop: Header=BB1_13 Depth=1
	s_or_b64 exec, exec, s[76:77]
; %bb.218:                              ;   in Loop: Header=BB1_13 Depth=1
	s_and_saveexec_b64 s[10:11], s[38:39]
	s_cbranch_execz .LBB1_572
; %bb.219:                              ;   in Loop: Header=BB1_13 Depth=1
	buffer_load_dword v0, off, s[0:3], 0 offset:72 ; 4-byte Folded Reload
	buffer_load_dword v1, off, s[0:3], 0 offset:76 ; 4-byte Folded Reload
	s_mov_b64 s[12:13], 0
	s_waitcnt vmcnt(0)
	v_mov_b32_e32 v27, v0
	s_branch .LBB1_221
.LBB1_220:                              ;   in Loop: Header=BB1_221 Depth=2
	s_or_b64 exec, exec, s[14:15]
	v_add_u32_e32 v27, 32, v27
	v_cmp_ge_u32_e32 vcc, v27, v42
	s_or_b64 s[12:13], vcc, s[12:13]
	s_andn2_b64 exec, exec, s[12:13]
	s_cbranch_execz .LBB1_572
.LBB1_221:                              ;   Parent Loop BB1_13 Depth=1
                                        ; =>  This Loop Header: Depth=2
                                        ;       Child Loop BB1_330 Depth 3
                                        ;       Child Loop BB1_338 Depth 3
	;; [unrolled: 1-line block ×9, first 2 shown]
                                        ;         Child Loop BB1_431 Depth 4
                                        ;         Child Loop BB1_439 Depth 4
	;; [unrolled: 1-line block ×11, first 2 shown]
	v_mad_u64_u32 v[25:26], s[4:5], v27, 56, v[40:41]
	global_load_dword v0, v[25:26], off offset:8
	s_waitcnt vmcnt(0)
	v_cmp_ne_u32_e32 vcc, -1, v0
	s_and_saveexec_b64 s[14:15], vcc
	s_cbranch_execz .LBB1_220
; %bb.222:                              ;   in Loop: Header=BB1_221 Depth=2
	global_load_dwordx4 v[0:3], v[25:26], off offset:32
	global_load_dwordx4 v[5:8], v[25:26], off offset:16
	v_mov_b32_e32 v9, 0x41
	v_mov_b32_e32 v10, 0x43
	;; [unrolled: 1-line block ×4, first 2 shown]
	buffer_store_byte v9, off, s[0:3], 0
	buffer_store_byte v10, off, s[0:3], 0 offset:16
	buffer_store_byte v11, off, s[0:3], 0 offset:32
	;; [unrolled: 1-line block ×3, first 2 shown]
	s_waitcnt vmcnt(0)
	buffer_store_dword v5, off, s[0:3], 0 offset:4
	buffer_store_dword v0, off, s[0:3], 0 offset:8
	;; [unrolled: 1-line block ×8, first 2 shown]
	v_mov_b32_e32 v14, v3
	v_mov_b32_e32 v15, v2
	v_mov_b32_e32 v16, v1
	v_cmp_lt_u32_e32 vcc, 1, v0
	v_mov_b32_e32 v13, v0
	s_and_saveexec_b64 s[8:9], vcc
	s_cbranch_execz .LBB1_236
; %bb.223:                              ;   in Loop: Header=BB1_221 Depth=2
	v_cvt_f64_u32_e32 v[9:10], v0
	v_mov_b32_e32 v13, 2
	v_cmp_ngt_f64_e32 vcc, v[48:49], v[9:10]
	s_and_saveexec_b64 s[16:17], vcc
	s_cbranch_execz .LBB1_235
; %bb.224:                              ;   in Loop: Header=BB1_221 Depth=2
	buffer_load_dword v17, off, s[0:3], 0 offset:80 ; 4-byte Folded Reload
	buffer_load_dword v18, off, s[0:3], 0 offset:84 ; 4-byte Folded Reload
	v_cvt_f64_u32_e32 v[11:12], v5
	v_cmp_nle_f64_e64 s[4:5], v[48:49], v[9:10]
	v_mov_b32_e32 v13, 3
	v_cmp_ngt_f64_e64 s[6:7], v[48:49], v[11:12]
	s_waitcnt vmcnt(0)
	v_cmp_ngt_f64_e32 vcc, v[17:18], v[9:10]
	s_or_b64 s[4:5], vcc, s[4:5]
	s_or_b64 s[18:19], s[4:5], s[6:7]
	s_and_saveexec_b64 s[6:7], s[18:19]
	s_cbranch_execz .LBB1_234
; %bb.225:                              ;   in Loop: Header=BB1_221 Depth=2
	v_cmp_nle_f64_e32 vcc, v[48:49], v[11:12]
	v_mov_b32_e32 v13, 4
	s_or_b64 s[4:5], s[4:5], vcc
	s_and_saveexec_b64 s[18:19], s[4:5]
	s_cbranch_execz .LBB1_233
; %bb.226:                              ;   in Loop: Header=BB1_221 Depth=2
	buffer_load_dword v17, off, s[0:3], 0 offset:80 ; 4-byte Folded Reload
	buffer_load_dword v18, off, s[0:3], 0 offset:84 ; 4-byte Folded Reload
	v_cmp_ngt_f64_e64 s[4:5], v[48:49], v[11:12]
	v_mov_b32_e32 v13, 5
	s_waitcnt vmcnt(0)
	v_cmp_nle_f64_e64 s[22:23], v[17:18], v[9:10]
	v_cmp_le_f64_e32 vcc, v[17:18], v[9:10]
	s_or_b64 s[4:5], s[22:23], s[4:5]
	s_and_saveexec_b64 s[20:21], s[4:5]
	s_cbranch_execz .LBB1_232
; %bb.227:                              ;   in Loop: Header=BB1_221 Depth=2
	s_and_saveexec_b64 s[24:25], vcc
	s_cbranch_execz .LBB1_229
; %bb.228:                              ;   in Loop: Header=BB1_221 Depth=2
	buffer_load_dword v9, off, s[0:3], 0 offset:80 ; 4-byte Folded Reload
	buffer_load_dword v10, off, s[0:3], 0 offset:84 ; 4-byte Folded Reload
	v_cmp_nlt_f64_e32 vcc, v[48:49], v[11:12]
	s_andn2_b64 s[22:23], s[22:23], exec
	s_waitcnt vmcnt(0)
	v_cmp_ngt_f64_e64 s[4:5], v[9:10], v[11:12]
	s_or_b64 s[4:5], vcc, s[4:5]
	s_and_b64 s[4:5], s[4:5], exec
	s_or_b64 s[22:23], s[22:23], s[4:5]
.LBB1_229:                              ;   in Loop: Header=BB1_221 Depth=2
	s_or_b64 exec, exec, s[24:25]
	v_mov_b32_e32 v13, 6
	s_and_saveexec_b64 s[4:5], s[22:23]
; %bb.230:                              ;   in Loop: Header=BB1_221 Depth=2
	v_mov_b32_e32 v13, 7
; %bb.231:                              ;   in Loop: Header=BB1_221 Depth=2
	s_or_b64 exec, exec, s[4:5]
.LBB1_232:                              ;   in Loop: Header=BB1_221 Depth=2
	s_or_b64 exec, exec, s[20:21]
.LBB1_233:                              ;   in Loop: Header=BB1_221 Depth=2
	s_or_b64 exec, exec, s[18:19]
.LBB1_234:                              ;   in Loop: Header=BB1_221 Depth=2
	s_or_b64 exec, exec, s[6:7]
.LBB1_235:                              ;   in Loop: Header=BB1_221 Depth=2
	s_or_b64 exec, exec, s[16:17]
.LBB1_236:                              ;   in Loop: Header=BB1_221 Depth=2
	s_or_b64 exec, exec, s[8:9]
	v_cmp_lt_u32_e32 vcc, 1, v1
	buffer_store_dword v13, off, s[0:3], 0 offset:12
	s_and_saveexec_b64 s[8:9], vcc
	s_cbranch_execz .LBB1_250
; %bb.237:                              ;   in Loop: Header=BB1_221 Depth=2
	v_cvt_f64_u32_e32 v[9:10], v1
	v_mov_b32_e32 v16, 2
	v_cmp_ngt_f64_e32 vcc, v[48:49], v[9:10]
	s_and_saveexec_b64 s[16:17], vcc
	s_cbranch_execz .LBB1_249
; %bb.238:                              ;   in Loop: Header=BB1_221 Depth=2
	buffer_load_dword v16, off, s[0:3], 0 offset:80 ; 4-byte Folded Reload
	buffer_load_dword v17, off, s[0:3], 0 offset:84 ; 4-byte Folded Reload
	v_cvt_f64_u32_e32 v[11:12], v6
	v_cmp_nle_f64_e64 s[4:5], v[48:49], v[9:10]
	v_cmp_ngt_f64_e64 s[6:7], v[48:49], v[11:12]
	s_waitcnt vmcnt(0)
	v_cmp_ngt_f64_e32 vcc, v[16:17], v[9:10]
	v_mov_b32_e32 v16, 3
	s_or_b64 s[4:5], vcc, s[4:5]
	s_or_b64 s[18:19], s[4:5], s[6:7]
	s_and_saveexec_b64 s[6:7], s[18:19]
	s_cbranch_execz .LBB1_248
; %bb.239:                              ;   in Loop: Header=BB1_221 Depth=2
	v_cmp_nle_f64_e32 vcc, v[48:49], v[11:12]
	v_mov_b32_e32 v16, 4
	s_or_b64 s[4:5], s[4:5], vcc
	s_and_saveexec_b64 s[18:19], s[4:5]
	s_cbranch_execz .LBB1_247
; %bb.240:                              ;   in Loop: Header=BB1_221 Depth=2
	buffer_load_dword v16, off, s[0:3], 0 offset:80 ; 4-byte Folded Reload
	buffer_load_dword v17, off, s[0:3], 0 offset:84 ; 4-byte Folded Reload
	v_cmp_ngt_f64_e64 s[4:5], v[48:49], v[11:12]
	s_waitcnt vmcnt(0)
	v_cmp_nle_f64_e64 s[22:23], v[16:17], v[9:10]
	v_cmp_le_f64_e32 vcc, v[16:17], v[9:10]
	v_mov_b32_e32 v16, 5
	s_or_b64 s[4:5], s[22:23], s[4:5]
	s_and_saveexec_b64 s[20:21], s[4:5]
	s_cbranch_execz .LBB1_246
; %bb.241:                              ;   in Loop: Header=BB1_221 Depth=2
	s_and_saveexec_b64 s[24:25], vcc
	s_cbranch_execz .LBB1_243
; %bb.242:                              ;   in Loop: Header=BB1_221 Depth=2
	buffer_load_dword v9, off, s[0:3], 0 offset:80 ; 4-byte Folded Reload
	buffer_load_dword v10, off, s[0:3], 0 offset:84 ; 4-byte Folded Reload
	v_cmp_nlt_f64_e32 vcc, v[48:49], v[11:12]
	s_andn2_b64 s[22:23], s[22:23], exec
	s_waitcnt vmcnt(0)
	v_cmp_ngt_f64_e64 s[4:5], v[9:10], v[11:12]
	s_or_b64 s[4:5], vcc, s[4:5]
	s_and_b64 s[4:5], s[4:5], exec
	s_or_b64 s[22:23], s[22:23], s[4:5]
.LBB1_243:                              ;   in Loop: Header=BB1_221 Depth=2
	s_or_b64 exec, exec, s[24:25]
	v_mov_b32_e32 v16, 6
	s_and_saveexec_b64 s[4:5], s[22:23]
; %bb.244:                              ;   in Loop: Header=BB1_221 Depth=2
	v_mov_b32_e32 v16, 7
; %bb.245:                              ;   in Loop: Header=BB1_221 Depth=2
	s_or_b64 exec, exec, s[4:5]
.LBB1_246:                              ;   in Loop: Header=BB1_221 Depth=2
	s_or_b64 exec, exec, s[20:21]
.LBB1_247:                              ;   in Loop: Header=BB1_221 Depth=2
	s_or_b64 exec, exec, s[18:19]
.LBB1_248:                              ;   in Loop: Header=BB1_221 Depth=2
	s_or_b64 exec, exec, s[6:7]
.LBB1_249:                              ;   in Loop: Header=BB1_221 Depth=2
	s_or_b64 exec, exec, s[16:17]
.LBB1_250:                              ;   in Loop: Header=BB1_221 Depth=2
	s_or_b64 exec, exec, s[8:9]
	v_cmp_lt_u32_e32 vcc, 1, v2
	buffer_store_dword v16, off, s[0:3], 0 offset:28
	s_and_saveexec_b64 s[8:9], vcc
	s_cbranch_execz .LBB1_264
; %bb.251:                              ;   in Loop: Header=BB1_221 Depth=2
	v_cvt_f64_u32_e32 v[9:10], v2
	v_mov_b32_e32 v15, 2
	v_cmp_ngt_f64_e32 vcc, v[48:49], v[9:10]
	s_and_saveexec_b64 s[16:17], vcc
	s_cbranch_execz .LBB1_263
; %bb.252:                              ;   in Loop: Header=BB1_221 Depth=2
	buffer_load_dword v17, off, s[0:3], 0 offset:80 ; 4-byte Folded Reload
	buffer_load_dword v18, off, s[0:3], 0 offset:84 ; 4-byte Folded Reload
	v_cvt_f64_u32_e32 v[11:12], v7
	v_cmp_nle_f64_e64 s[4:5], v[48:49], v[9:10]
	v_mov_b32_e32 v15, 3
	v_cmp_ngt_f64_e64 s[6:7], v[48:49], v[11:12]
	s_waitcnt vmcnt(0)
	v_cmp_ngt_f64_e32 vcc, v[17:18], v[9:10]
	s_or_b64 s[4:5], vcc, s[4:5]
	s_or_b64 s[18:19], s[4:5], s[6:7]
	s_and_saveexec_b64 s[6:7], s[18:19]
	s_cbranch_execz .LBB1_262
; %bb.253:                              ;   in Loop: Header=BB1_221 Depth=2
	v_cmp_nle_f64_e32 vcc, v[48:49], v[11:12]
	v_mov_b32_e32 v15, 4
	s_or_b64 s[4:5], s[4:5], vcc
	s_and_saveexec_b64 s[18:19], s[4:5]
	s_cbranch_execz .LBB1_261
; %bb.254:                              ;   in Loop: Header=BB1_221 Depth=2
	buffer_load_dword v17, off, s[0:3], 0 offset:80 ; 4-byte Folded Reload
	buffer_load_dword v18, off, s[0:3], 0 offset:84 ; 4-byte Folded Reload
	v_cmp_ngt_f64_e64 s[4:5], v[48:49], v[11:12]
	v_mov_b32_e32 v15, 5
	s_waitcnt vmcnt(0)
	v_cmp_nle_f64_e64 s[22:23], v[17:18], v[9:10]
	v_cmp_le_f64_e32 vcc, v[17:18], v[9:10]
	s_or_b64 s[4:5], s[22:23], s[4:5]
	s_and_saveexec_b64 s[20:21], s[4:5]
	s_cbranch_execz .LBB1_260
; %bb.255:                              ;   in Loop: Header=BB1_221 Depth=2
	s_and_saveexec_b64 s[24:25], vcc
	s_cbranch_execz .LBB1_257
; %bb.256:                              ;   in Loop: Header=BB1_221 Depth=2
	buffer_load_dword v9, off, s[0:3], 0 offset:80 ; 4-byte Folded Reload
	buffer_load_dword v10, off, s[0:3], 0 offset:84 ; 4-byte Folded Reload
	v_cmp_nlt_f64_e32 vcc, v[48:49], v[11:12]
	s_andn2_b64 s[22:23], s[22:23], exec
	s_waitcnt vmcnt(0)
	v_cmp_ngt_f64_e64 s[4:5], v[9:10], v[11:12]
	s_or_b64 s[4:5], vcc, s[4:5]
	s_and_b64 s[4:5], s[4:5], exec
	s_or_b64 s[22:23], s[22:23], s[4:5]
.LBB1_257:                              ;   in Loop: Header=BB1_221 Depth=2
	s_or_b64 exec, exec, s[24:25]
	v_mov_b32_e32 v15, 6
	s_and_saveexec_b64 s[4:5], s[22:23]
; %bb.258:                              ;   in Loop: Header=BB1_221 Depth=2
	v_mov_b32_e32 v15, 7
; %bb.259:                              ;   in Loop: Header=BB1_221 Depth=2
	s_or_b64 exec, exec, s[4:5]
.LBB1_260:                              ;   in Loop: Header=BB1_221 Depth=2
	s_or_b64 exec, exec, s[20:21]
.LBB1_261:                              ;   in Loop: Header=BB1_221 Depth=2
	s_or_b64 exec, exec, s[18:19]
.LBB1_262:                              ;   in Loop: Header=BB1_221 Depth=2
	s_or_b64 exec, exec, s[6:7]
.LBB1_263:                              ;   in Loop: Header=BB1_221 Depth=2
	s_or_b64 exec, exec, s[16:17]
.LBB1_264:                              ;   in Loop: Header=BB1_221 Depth=2
	s_or_b64 exec, exec, s[8:9]
	v_cmp_lt_u32_e32 vcc, 1, v3
	buffer_store_dword v15, off, s[0:3], 0 offset:44
	s_and_saveexec_b64 s[8:9], vcc
	s_cbranch_execz .LBB1_278
; %bb.265:                              ;   in Loop: Header=BB1_221 Depth=2
	v_cvt_f64_u32_e32 v[9:10], v3
	v_mov_b32_e32 v14, 2
	v_cmp_ngt_f64_e32 vcc, v[48:49], v[9:10]
	s_and_saveexec_b64 s[16:17], vcc
	s_cbranch_execz .LBB1_277
; %bb.266:                              ;   in Loop: Header=BB1_221 Depth=2
	buffer_load_dword v17, off, s[0:3], 0 offset:80 ; 4-byte Folded Reload
	buffer_load_dword v18, off, s[0:3], 0 offset:84 ; 4-byte Folded Reload
	v_cvt_f64_u32_e32 v[11:12], v8
	v_cmp_nle_f64_e64 s[4:5], v[48:49], v[9:10]
	v_mov_b32_e32 v14, 3
	v_cmp_ngt_f64_e64 s[6:7], v[48:49], v[11:12]
	s_waitcnt vmcnt(0)
	v_cmp_ngt_f64_e32 vcc, v[17:18], v[9:10]
	s_or_b64 s[4:5], vcc, s[4:5]
	s_or_b64 s[18:19], s[4:5], s[6:7]
	s_and_saveexec_b64 s[6:7], s[18:19]
	s_cbranch_execz .LBB1_276
; %bb.267:                              ;   in Loop: Header=BB1_221 Depth=2
	v_cmp_nle_f64_e32 vcc, v[48:49], v[11:12]
	v_mov_b32_e32 v14, 4
	s_or_b64 s[4:5], s[4:5], vcc
	s_and_saveexec_b64 s[18:19], s[4:5]
	s_cbranch_execz .LBB1_275
; %bb.268:                              ;   in Loop: Header=BB1_221 Depth=2
	buffer_load_dword v17, off, s[0:3], 0 offset:80 ; 4-byte Folded Reload
	buffer_load_dword v18, off, s[0:3], 0 offset:84 ; 4-byte Folded Reload
	v_cmp_ngt_f64_e64 s[4:5], v[48:49], v[11:12]
	v_mov_b32_e32 v14, 5
	s_waitcnt vmcnt(0)
	v_cmp_nle_f64_e64 s[22:23], v[17:18], v[9:10]
	v_cmp_le_f64_e32 vcc, v[17:18], v[9:10]
	s_or_b64 s[4:5], s[22:23], s[4:5]
	s_and_saveexec_b64 s[20:21], s[4:5]
	s_cbranch_execz .LBB1_274
; %bb.269:                              ;   in Loop: Header=BB1_221 Depth=2
	s_and_saveexec_b64 s[24:25], vcc
	s_cbranch_execz .LBB1_271
; %bb.270:                              ;   in Loop: Header=BB1_221 Depth=2
	buffer_load_dword v9, off, s[0:3], 0 offset:80 ; 4-byte Folded Reload
	buffer_load_dword v10, off, s[0:3], 0 offset:84 ; 4-byte Folded Reload
	v_cmp_nlt_f64_e32 vcc, v[48:49], v[11:12]
	s_andn2_b64 s[22:23], s[22:23], exec
	s_waitcnt vmcnt(0)
	v_cmp_ngt_f64_e64 s[4:5], v[9:10], v[11:12]
	s_or_b64 s[4:5], vcc, s[4:5]
	s_and_b64 s[4:5], s[4:5], exec
	s_or_b64 s[22:23], s[22:23], s[4:5]
.LBB1_271:                              ;   in Loop: Header=BB1_221 Depth=2
	s_or_b64 exec, exec, s[24:25]
	v_mov_b32_e32 v14, 6
	s_and_saveexec_b64 s[4:5], s[22:23]
; %bb.272:                              ;   in Loop: Header=BB1_221 Depth=2
	v_mov_b32_e32 v14, 7
; %bb.273:                              ;   in Loop: Header=BB1_221 Depth=2
	s_or_b64 exec, exec, s[4:5]
.LBB1_274:                              ;   in Loop: Header=BB1_221 Depth=2
	s_or_b64 exec, exec, s[20:21]
.LBB1_275:                              ;   in Loop: Header=BB1_221 Depth=2
	s_or_b64 exec, exec, s[18:19]
.LBB1_276:                              ;   in Loop: Header=BB1_221 Depth=2
	s_or_b64 exec, exec, s[6:7]
.LBB1_277:                              ;   in Loop: Header=BB1_221 Depth=2
	s_or_b64 exec, exec, s[16:17]
.LBB1_278:                              ;   in Loop: Header=BB1_221 Depth=2
	s_or_b64 exec, exec, s[8:9]
	v_cmp_ne_u32_e32 vcc, v13, v16
	buffer_store_dword v14, off, s[0:3], 0 offset:60
                                        ; implicit-def: $sgpr4_sgpr5
	s_and_saveexec_b64 s[6:7], vcc
	s_xor_b64 s[6:7], exec, s[6:7]
	s_cbranch_execnz .LBB1_349
; %bb.279:                              ;   in Loop: Header=BB1_221 Depth=2
	s_andn2_saveexec_b64 s[6:7], s[6:7]
	s_cbranch_execnz .LBB1_350
.LBB1_280:                              ;   in Loop: Header=BB1_221 Depth=2
	s_or_b64 exec, exec, s[6:7]
	s_and_saveexec_b64 s[6:7], s[4:5]
	s_cbranch_execz .LBB1_282
.LBB1_281:                              ;   in Loop: Header=BB1_221 Depth=2
	v_mov_b32_e32 v0, s45
	buffer_load_dword v1, off, s[0:3], 0
	buffer_load_dword v5, off, s[0:3], 0 offset:8
	buffer_load_dword v6, off, s[0:3], 0 offset:12
	buffer_load_dword v9, v0, s[0:3], 0 offen
	buffer_load_dword v10, v0, s[0:3], 0 offen offset:4
	buffer_load_dword v11, v0, s[0:3], 0 offen offset:8
	;; [unrolled: 1-line block ×3, first 2 shown]
	buffer_load_dword v12, off, s[0:3], 0 offset:4
	s_waitcnt vmcnt(0)
	ds_write2_b32 v47, v5, v6 offset0:2 offset1:3
	buffer_store_dword v1, v0, s[0:3], 0 offen
	buffer_store_dword v5, v0, s[0:3], 0 offen offset:8
	ds_write2_b32 v47, v1, v12 offset1:1
	buffer_store_dword v12, v0, s[0:3], 0 offen offset:4
	buffer_store_dword v9, off, s[0:3], 0
	buffer_store_dword v10, off, s[0:3], 0 offset:4
	buffer_store_dword v11, off, s[0:3], 0 offset:8
	buffer_store_dword v13, off, s[0:3], 0 offset:12
	buffer_store_dword v6, v0, s[0:3], 0 offen offset:12
.LBB1_282:                              ;   in Loop: Header=BB1_221 Depth=2
	s_or_b64 exec, exec, s[6:7]
	v_cmp_ne_u32_e32 vcc, v13, v15
                                        ; implicit-def: $sgpr4_sgpr5
	s_and_saveexec_b64 s[6:7], vcc
	s_xor_b64 s[6:7], exec, s[6:7]
	s_cbranch_execnz .LBB1_355
; %bb.283:                              ;   in Loop: Header=BB1_221 Depth=2
	s_andn2_saveexec_b64 s[6:7], s[6:7]
	s_cbranch_execnz .LBB1_356
.LBB1_284:                              ;   in Loop: Header=BB1_221 Depth=2
	s_or_b64 exec, exec, s[6:7]
	s_and_saveexec_b64 s[6:7], s[4:5]
	s_cbranch_execz .LBB1_286
.LBB1_285:                              ;   in Loop: Header=BB1_221 Depth=2
	v_mov_b32_e32 v0, s86
	buffer_load_dword v1, off, s[0:3], 0
	buffer_load_dword v2, off, s[0:3], 0 offset:8
	buffer_load_dword v5, off, s[0:3], 0 offset:12
	buffer_load_dword v6, v0, s[0:3], 0 offen
	buffer_load_dword v7, v0, s[0:3], 0 offen offset:4
	buffer_load_dword v9, v0, s[0:3], 0 offen offset:8
	;; [unrolled: 1-line block ×3, first 2 shown]
	buffer_load_dword v10, off, s[0:3], 0 offset:4
	s_waitcnt vmcnt(0)
	ds_write2_b32 v47, v2, v5 offset0:2 offset1:3
	buffer_store_dword v1, v0, s[0:3], 0 offen
	buffer_store_dword v2, v0, s[0:3], 0 offen offset:8
	ds_write2_b32 v47, v1, v10 offset1:1
	buffer_store_dword v10, v0, s[0:3], 0 offen offset:4
	buffer_store_dword v6, off, s[0:3], 0
	buffer_store_dword v7, off, s[0:3], 0 offset:4
	buffer_store_dword v9, off, s[0:3], 0 offset:8
	buffer_store_dword v13, off, s[0:3], 0 offset:12
	buffer_store_dword v5, v0, s[0:3], 0 offen offset:12
.LBB1_286:                              ;   in Loop: Header=BB1_221 Depth=2
	s_or_b64 exec, exec, s[6:7]
	v_cmp_ne_u32_e32 vcc, v13, v14
                                        ; implicit-def: $sgpr4_sgpr5
	s_and_saveexec_b64 s[6:7], vcc
	s_xor_b64 s[6:7], exec, s[6:7]
	s_cbranch_execnz .LBB1_361
; %bb.287:                              ;   in Loop: Header=BB1_221 Depth=2
	s_andn2_saveexec_b64 s[6:7], s[6:7]
	s_cbranch_execnz .LBB1_362
.LBB1_288:                              ;   in Loop: Header=BB1_221 Depth=2
	s_or_b64 exec, exec, s[6:7]
	s_and_saveexec_b64 s[6:7], s[4:5]
	s_cbranch_execz .LBB1_290
.LBB1_289:                              ;   in Loop: Header=BB1_221 Depth=2
	v_mov_b32_e32 v0, s87
	buffer_load_dword v1, off, s[0:3], 0
	buffer_load_dword v2, off, s[0:3], 0 offset:8
	buffer_load_dword v3, off, s[0:3], 0 offset:12
	buffer_load_dword v5, v0, s[0:3], 0 offen
	buffer_load_dword v6, v0, s[0:3], 0 offen offset:4
	buffer_load_dword v7, v0, s[0:3], 0 offen offset:8
	;; [unrolled: 1-line block ×3, first 2 shown]
	buffer_load_dword v8, off, s[0:3], 0 offset:4
	s_waitcnt vmcnt(0)
	ds_write2_b32 v47, v2, v3 offset0:2 offset1:3
	buffer_store_dword v1, v0, s[0:3], 0 offen
	buffer_store_dword v2, v0, s[0:3], 0 offen offset:8
	ds_write2_b32 v47, v1, v8 offset1:1
	buffer_store_dword v8, v0, s[0:3], 0 offen offset:4
	buffer_store_dword v5, off, s[0:3], 0
	buffer_store_dword v6, off, s[0:3], 0 offset:4
	buffer_store_dword v7, off, s[0:3], 0 offset:8
	;; [unrolled: 1-line block ×3, first 2 shown]
	buffer_store_dword v3, v0, s[0:3], 0 offen offset:12
.LBB1_290:                              ;   in Loop: Header=BB1_221 Depth=2
	s_or_b64 exec, exec, s[6:7]
	buffer_load_dword v0, off, s[0:3], 0 offset:28
                                        ; implicit-def: $sgpr4_sgpr5
	s_waitcnt vmcnt(0)
	v_cmp_ne_u32_e32 vcc, v0, v13
	s_and_saveexec_b64 s[6:7], vcc
	s_xor_b64 s[6:7], exec, s[6:7]
	s_cbranch_execnz .LBB1_367
; %bb.291:                              ;   in Loop: Header=BB1_221 Depth=2
	s_andn2_saveexec_b64 s[6:7], s[6:7]
	s_cbranch_execnz .LBB1_368
.LBB1_292:                              ;   in Loop: Header=BB1_221 Depth=2
	s_or_b64 exec, exec, s[6:7]
	s_and_saveexec_b64 s[6:7], s[4:5]
	s_cbranch_execz .LBB1_294
.LBB1_293:                              ;   in Loop: Header=BB1_221 Depth=2
	buffer_load_dword v0, off, s[0:3], 0 offset:12
	v_mov_b32_e32 v1, s45
	buffer_load_dword v2, v1, s[0:3], 0 offen offset:4
	buffer_load_dword v3, v1, s[0:3], 0 offen offset:12
	;; [unrolled: 1-line block ×3, first 2 shown]
	buffer_load_dword v6, v1, s[0:3], 0 offen
	buffer_load_dword v7, off, s[0:3], 0
	buffer_load_dword v8, off, s[0:3], 0 offset:4
	buffer_load_dword v9, off, s[0:3], 0 offset:8
	s_waitcnt vmcnt(0)
	buffer_store_dword v0, v1, s[0:3], 0 offen offset:12
	buffer_load_dword v0, off, s[0:3], 0 offset:28
	ds_write2_b32 v47, v5, v3 offset0:2 offset1:3
	ds_write2_b32 v47, v6, v2 offset1:1
	buffer_store_dword v7, v1, s[0:3], 0 offen
	buffer_store_dword v8, v1, s[0:3], 0 offen offset:4
	buffer_store_dword v9, v1, s[0:3], 0 offen offset:8
	buffer_store_dword v6, off, s[0:3], 0
	buffer_store_dword v2, off, s[0:3], 0 offset:4
	buffer_store_dword v5, off, s[0:3], 0 offset:8
	;; [unrolled: 1-line block ×3, first 2 shown]
.LBB1_294:                              ;   in Loop: Header=BB1_221 Depth=2
	s_or_b64 exec, exec, s[6:7]
	buffer_load_dword v1, off, s[0:3], 0 offset:44
                                        ; implicit-def: $sgpr4_sgpr5
	s_waitcnt vmcnt(0)
	v_cmp_ne_u32_e32 vcc, v0, v1
	s_and_saveexec_b64 s[6:7], vcc
	s_xor_b64 s[6:7], exec, s[6:7]
	s_cbranch_execnz .LBB1_373
; %bb.295:                              ;   in Loop: Header=BB1_221 Depth=2
	s_andn2_saveexec_b64 s[6:7], s[6:7]
	s_cbranch_execnz .LBB1_374
.LBB1_296:                              ;   in Loop: Header=BB1_221 Depth=2
	s_or_b64 exec, exec, s[6:7]
	s_and_saveexec_b64 s[6:7], s[4:5]
	s_cbranch_execz .LBB1_298
.LBB1_297:                              ;   in Loop: Header=BB1_221 Depth=2
	v_mov_b32_e32 v1, s86
	buffer_load_dword v0, v1, s[0:3], 0 offen offset:12
	v_mov_b32_e32 v2, s45
	buffer_load_dword v3, v2, s[0:3], 0 offen
	buffer_load_dword v5, v2, s[0:3], 0 offen offset:8
	buffer_load_dword v6, v2, s[0:3], 0 offen offset:12
	buffer_load_dword v7, v1, s[0:3], 0 offen
	buffer_load_dword v8, v1, s[0:3], 0 offen offset:4
	buffer_load_dword v9, v1, s[0:3], 0 offen offset:8
	buffer_load_dword v10, v2, s[0:3], 0 offen offset:4
	s_waitcnt vmcnt(0)
	buffer_store_dword v0, v2, s[0:3], 0 offen offset:12
	buffer_load_dword v0, off, s[0:3], 0 offset:28
	ds_write2_b32 v47, v5, v6 offset0:2 offset1:3
	ds_write2_b32 v47, v3, v10 offset1:1
	buffer_store_dword v7, v2, s[0:3], 0 offen
	buffer_store_dword v8, v2, s[0:3], 0 offen offset:4
	buffer_store_dword v9, v2, s[0:3], 0 offen offset:8
	buffer_store_dword v3, v1, s[0:3], 0 offen
	buffer_store_dword v10, v1, s[0:3], 0 offen offset:4
	buffer_store_dword v5, v1, s[0:3], 0 offen offset:8
	;; [unrolled: 1-line block ×3, first 2 shown]
.LBB1_298:                              ;   in Loop: Header=BB1_221 Depth=2
	s_or_b64 exec, exec, s[6:7]
	buffer_load_dword v1, off, s[0:3], 0 offset:60
                                        ; implicit-def: $sgpr4_sgpr5
	s_waitcnt vmcnt(0)
	v_cmp_ne_u32_e32 vcc, v0, v1
	s_and_saveexec_b64 s[6:7], vcc
	s_xor_b64 s[6:7], exec, s[6:7]
	s_cbranch_execnz .LBB1_379
; %bb.299:                              ;   in Loop: Header=BB1_221 Depth=2
	s_andn2_saveexec_b64 s[6:7], s[6:7]
	s_cbranch_execnz .LBB1_380
.LBB1_300:                              ;   in Loop: Header=BB1_221 Depth=2
	s_or_b64 exec, exec, s[6:7]
	s_and_saveexec_b64 s[6:7], s[4:5]
	s_cbranch_execz .LBB1_302
.LBB1_301:                              ;   in Loop: Header=BB1_221 Depth=2
	v_mov_b32_e32 v0, s45
	v_mov_b32_e32 v1, s87
	buffer_load_dword v2, v0, s[0:3], 0 offen
	buffer_load_dword v3, v0, s[0:3], 0 offen offset:8
	buffer_load_dword v5, v0, s[0:3], 0 offen offset:12
	buffer_load_dword v6, v1, s[0:3], 0 offen
	buffer_load_dword v7, v1, s[0:3], 0 offen offset:4
	buffer_load_dword v8, v1, s[0:3], 0 offen offset:8
	;; [unrolled: 1-line block ×4, first 2 shown]
	s_waitcnt vmcnt(0)
	ds_write2_b32 v47, v3, v5 offset0:2 offset1:3
	ds_write2_b32 v47, v2, v10 offset1:1
	buffer_store_dword v6, v0, s[0:3], 0 offen
	buffer_store_dword v7, v0, s[0:3], 0 offen offset:4
	buffer_store_dword v8, v0, s[0:3], 0 offen offset:8
	;; [unrolled: 1-line block ×3, first 2 shown]
	buffer_store_dword v2, v1, s[0:3], 0 offen
	buffer_store_dword v10, v1, s[0:3], 0 offen offset:4
	buffer_store_dword v3, v1, s[0:3], 0 offen offset:8
	;; [unrolled: 1-line block ×3, first 2 shown]
.LBB1_302:                              ;   in Loop: Header=BB1_221 Depth=2
	s_or_b64 exec, exec, s[6:7]
	buffer_load_dword v0, off, s[0:3], 0 offset:12
	buffer_load_dword v1, off, s[0:3], 0 offset:44
                                        ; implicit-def: $sgpr4_sgpr5
	s_waitcnt vmcnt(0)
	v_cmp_ne_u32_e32 vcc, v1, v0
	s_and_saveexec_b64 s[6:7], vcc
	s_xor_b64 s[6:7], exec, s[6:7]
	s_cbranch_execnz .LBB1_385
; %bb.303:                              ;   in Loop: Header=BB1_221 Depth=2
	s_andn2_saveexec_b64 s[6:7], s[6:7]
	s_cbranch_execnz .LBB1_386
.LBB1_304:                              ;   in Loop: Header=BB1_221 Depth=2
	s_or_b64 exec, exec, s[6:7]
	s_and_saveexec_b64 s[6:7], s[4:5]
	s_cbranch_execz .LBB1_306
.LBB1_305:                              ;   in Loop: Header=BB1_221 Depth=2
	buffer_load_dword v0, off, s[0:3], 0 offset:12
	v_mov_b32_e32 v2, s86
	buffer_load_dword v3, v2, s[0:3], 0 offen offset:4
	buffer_load_dword v5, v2, s[0:3], 0 offen offset:12
	buffer_load_dword v6, v2, s[0:3], 0 offen offset:8
	buffer_load_dword v7, v2, s[0:3], 0 offen
	buffer_load_dword v8, off, s[0:3], 0
	buffer_load_dword v9, off, s[0:3], 0 offset:4
	buffer_load_dword v10, off, s[0:3], 0 offset:8
	s_waitcnt vmcnt(0)
	buffer_store_dword v0, v2, s[0:3], 0 offen offset:12
	buffer_load_dword v1, off, s[0:3], 0 offset:44
	ds_write2_b32 v47, v6, v5 offset0:2 offset1:3
	ds_write2_b32 v47, v7, v3 offset1:1
	buffer_store_dword v8, v2, s[0:3], 0 offen
	buffer_store_dword v9, v2, s[0:3], 0 offen offset:4
	buffer_store_dword v10, v2, s[0:3], 0 offen offset:8
	buffer_store_dword v7, off, s[0:3], 0
	buffer_store_dword v3, off, s[0:3], 0 offset:4
	buffer_store_dword v6, off, s[0:3], 0 offset:8
	;; [unrolled: 1-line block ×3, first 2 shown]
.LBB1_306:                              ;   in Loop: Header=BB1_221 Depth=2
	s_or_b64 exec, exec, s[6:7]
	buffer_load_dword v0, off, s[0:3], 0 offset:28
                                        ; implicit-def: $sgpr4_sgpr5
	s_waitcnt vmcnt(0)
	v_cmp_ne_u32_e32 vcc, v1, v0
	s_and_saveexec_b64 s[6:7], vcc
	s_xor_b64 s[6:7], exec, s[6:7]
	s_cbranch_execnz .LBB1_391
; %bb.307:                              ;   in Loop: Header=BB1_221 Depth=2
	s_andn2_saveexec_b64 s[6:7], s[6:7]
	s_cbranch_execnz .LBB1_392
.LBB1_308:                              ;   in Loop: Header=BB1_221 Depth=2
	s_or_b64 exec, exec, s[6:7]
	s_and_saveexec_b64 s[6:7], s[4:5]
	s_cbranch_execz .LBB1_310
.LBB1_309:                              ;   in Loop: Header=BB1_221 Depth=2
	v_mov_b32_e32 v0, s45
	buffer_load_dword v1, v0, s[0:3], 0 offen offset:12
	v_mov_b32_e32 v2, s86
	buffer_load_dword v3, v2, s[0:3], 0 offen
	buffer_load_dword v5, v2, s[0:3], 0 offen offset:8
	buffer_load_dword v6, v2, s[0:3], 0 offen offset:12
	buffer_load_dword v7, v0, s[0:3], 0 offen
	buffer_load_dword v8, v0, s[0:3], 0 offen offset:4
	buffer_load_dword v9, v0, s[0:3], 0 offen offset:8
	;; [unrolled: 1-line block ×3, first 2 shown]
	s_waitcnt vmcnt(0)
	buffer_store_dword v1, v2, s[0:3], 0 offen offset:12
	buffer_load_dword v1, off, s[0:3], 0 offset:44
	ds_write2_b32 v47, v5, v6 offset0:2 offset1:3
	ds_write2_b32 v47, v3, v10 offset1:1
	buffer_store_dword v7, v2, s[0:3], 0 offen
	buffer_store_dword v8, v2, s[0:3], 0 offen offset:4
	buffer_store_dword v9, v2, s[0:3], 0 offen offset:8
	buffer_store_dword v3, v0, s[0:3], 0 offen
	buffer_store_dword v10, v0, s[0:3], 0 offen offset:4
	buffer_store_dword v5, v0, s[0:3], 0 offen offset:8
	;; [unrolled: 1-line block ×3, first 2 shown]
.LBB1_310:                              ;   in Loop: Header=BB1_221 Depth=2
	s_or_b64 exec, exec, s[6:7]
	buffer_load_dword v0, off, s[0:3], 0 offset:60
                                        ; implicit-def: $sgpr4_sgpr5
	s_waitcnt vmcnt(0)
	v_cmp_ne_u32_e32 vcc, v1, v0
	s_and_saveexec_b64 s[6:7], vcc
	s_xor_b64 s[6:7], exec, s[6:7]
	s_cbranch_execnz .LBB1_397
; %bb.311:                              ;   in Loop: Header=BB1_221 Depth=2
	s_andn2_saveexec_b64 s[6:7], s[6:7]
	s_cbranch_execnz .LBB1_398
.LBB1_312:                              ;   in Loop: Header=BB1_221 Depth=2
	s_or_b64 exec, exec, s[6:7]
	s_and_saveexec_b64 s[6:7], s[4:5]
	s_cbranch_execz .LBB1_314
.LBB1_313:                              ;   in Loop: Header=BB1_221 Depth=2
	v_mov_b32_e32 v1, s86
	buffer_load_dword v2, v1, s[0:3], 0 offen offset:12
	v_mov_b32_e32 v3, s87
	buffer_load_dword v5, v3, s[0:3], 0 offen
	buffer_load_dword v6, v3, s[0:3], 0 offen offset:4
	buffer_load_dword v7, v3, s[0:3], 0 offen offset:8
	;; [unrolled: 1-line block ×3, first 2 shown]
	buffer_load_dword v9, v1, s[0:3], 0 offen
	buffer_load_dword v10, v1, s[0:3], 0 offen offset:4
	buffer_load_dword v11, v3, s[0:3], 0 offen offset:12
	s_waitcnt vmcnt(0)
	buffer_store_dword v2, v3, s[0:3], 0 offen offset:12
	buffer_load_dword v0, off, s[0:3], 0 offset:60
	ds_write2_b32 v47, v8, v2 offset0:2 offset1:3
	ds_write2_b32 v47, v9, v10 offset1:1
	buffer_store_dword v5, v1, s[0:3], 0 offen
	buffer_store_dword v6, v1, s[0:3], 0 offen offset:4
	buffer_store_dword v7, v1, s[0:3], 0 offen offset:8
	buffer_store_dword v11, v1, s[0:3], 0 offen offset:12
	buffer_store_dword v9, v3, s[0:3], 0 offen
	buffer_store_dword v10, v3, s[0:3], 0 offen offset:4
	buffer_store_dword v8, v3, s[0:3], 0 offen offset:8
.LBB1_314:                              ;   in Loop: Header=BB1_221 Depth=2
	s_or_b64 exec, exec, s[6:7]
	buffer_load_dword v1, off, s[0:3], 0 offset:12
                                        ; implicit-def: $sgpr4_sgpr5
	s_waitcnt vmcnt(0)
	v_cmp_ne_u32_e32 vcc, v0, v1
	s_and_saveexec_b64 s[6:7], vcc
	s_xor_b64 s[6:7], exec, s[6:7]
	s_cbranch_execnz .LBB1_403
; %bb.315:                              ;   in Loop: Header=BB1_221 Depth=2
	s_andn2_saveexec_b64 s[6:7], s[6:7]
	s_cbranch_execnz .LBB1_404
.LBB1_316:                              ;   in Loop: Header=BB1_221 Depth=2
	s_or_b64 exec, exec, s[6:7]
	s_and_saveexec_b64 s[6:7], s[4:5]
	s_cbranch_execz .LBB1_318
.LBB1_317:                              ;   in Loop: Header=BB1_221 Depth=2
	buffer_load_dword v0, off, s[0:3], 0 offset:12
	v_mov_b32_e32 v1, s87
	buffer_load_dword v2, v1, s[0:3], 0 offen offset:4
	buffer_load_dword v3, v1, s[0:3], 0 offen offset:12
	;; [unrolled: 1-line block ×3, first 2 shown]
	buffer_load_dword v6, v1, s[0:3], 0 offen
	buffer_load_dword v7, off, s[0:3], 0
	buffer_load_dword v8, off, s[0:3], 0 offset:4
	buffer_load_dword v9, off, s[0:3], 0 offset:8
	s_waitcnt vmcnt(0)
	buffer_store_dword v0, v1, s[0:3], 0 offen offset:12
	buffer_load_dword v0, off, s[0:3], 0 offset:60
	ds_write2_b32 v47, v5, v3 offset0:2 offset1:3
	ds_write2_b32 v47, v6, v2 offset1:1
	buffer_store_dword v7, v1, s[0:3], 0 offen
	buffer_store_dword v8, v1, s[0:3], 0 offen offset:4
	buffer_store_dword v9, v1, s[0:3], 0 offen offset:8
	buffer_store_dword v6, off, s[0:3], 0
	buffer_store_dword v2, off, s[0:3], 0 offset:4
	buffer_store_dword v5, off, s[0:3], 0 offset:8
	;; [unrolled: 1-line block ×3, first 2 shown]
.LBB1_318:                              ;   in Loop: Header=BB1_221 Depth=2
	s_or_b64 exec, exec, s[6:7]
	buffer_load_dword v1, off, s[0:3], 0 offset:28
                                        ; implicit-def: $sgpr4_sgpr5
	s_waitcnt vmcnt(0)
	v_cmp_ne_u32_e32 vcc, v0, v1
	s_and_saveexec_b64 s[6:7], vcc
	s_xor_b64 s[6:7], exec, s[6:7]
	s_cbranch_execnz .LBB1_409
; %bb.319:                              ;   in Loop: Header=BB1_221 Depth=2
	s_andn2_saveexec_b64 s[6:7], s[6:7]
	s_cbranch_execnz .LBB1_410
.LBB1_320:                              ;   in Loop: Header=BB1_221 Depth=2
	s_or_b64 exec, exec, s[6:7]
	s_and_saveexec_b64 s[6:7], s[4:5]
	s_cbranch_execz .LBB1_322
.LBB1_321:                              ;   in Loop: Header=BB1_221 Depth=2
	v_mov_b32_e32 v1, s45
	buffer_load_dword v0, v1, s[0:3], 0 offen offset:12
	v_mov_b32_e32 v2, s87
	buffer_load_dword v3, v2, s[0:3], 0 offen
	buffer_load_dword v5, v2, s[0:3], 0 offen offset:8
	buffer_load_dword v6, v2, s[0:3], 0 offen offset:12
	buffer_load_dword v7, v1, s[0:3], 0 offen
	buffer_load_dword v8, v1, s[0:3], 0 offen offset:4
	buffer_load_dword v9, v1, s[0:3], 0 offen offset:8
	;; [unrolled: 1-line block ×3, first 2 shown]
	s_waitcnt vmcnt(0)
	buffer_store_dword v0, v2, s[0:3], 0 offen offset:12
	buffer_load_dword v0, off, s[0:3], 0 offset:60
	ds_write2_b32 v47, v5, v6 offset0:2 offset1:3
	ds_write2_b32 v47, v3, v10 offset1:1
	buffer_store_dword v7, v2, s[0:3], 0 offen
	buffer_store_dword v8, v2, s[0:3], 0 offen offset:4
	buffer_store_dword v9, v2, s[0:3], 0 offen offset:8
	buffer_store_dword v3, v1, s[0:3], 0 offen
	buffer_store_dword v10, v1, s[0:3], 0 offen offset:4
	buffer_store_dword v5, v1, s[0:3], 0 offen offset:8
	;; [unrolled: 1-line block ×3, first 2 shown]
.LBB1_322:                              ;   in Loop: Header=BB1_221 Depth=2
	s_or_b64 exec, exec, s[6:7]
	buffer_load_dword v1, off, s[0:3], 0 offset:44
                                        ; implicit-def: $sgpr4_sgpr5
	s_waitcnt vmcnt(0)
	v_cmp_ne_u32_e32 vcc, v0, v1
	s_and_saveexec_b64 s[6:7], vcc
	s_xor_b64 s[6:7], exec, s[6:7]
	s_cbranch_execnz .LBB1_415
; %bb.323:                              ;   in Loop: Header=BB1_221 Depth=2
	s_andn2_saveexec_b64 s[6:7], s[6:7]
	s_cbranch_execnz .LBB1_416
.LBB1_324:                              ;   in Loop: Header=BB1_221 Depth=2
	s_or_b64 exec, exec, s[6:7]
	s_and_saveexec_b64 s[6:7], s[4:5]
	s_cbranch_execz .LBB1_326
.LBB1_325:                              ;   in Loop: Header=BB1_221 Depth=2
	v_mov_b32_e32 v0, s87
	v_mov_b32_e32 v1, s86
	buffer_load_dword v2, v0, s[0:3], 0 offen
	buffer_load_dword v3, v0, s[0:3], 0 offen offset:8
	buffer_load_dword v5, v0, s[0:3], 0 offen offset:12
	buffer_load_dword v6, v1, s[0:3], 0 offen
	buffer_load_dword v7, v1, s[0:3], 0 offen offset:4
	buffer_load_dword v8, v1, s[0:3], 0 offen offset:8
	;; [unrolled: 1-line block ×4, first 2 shown]
	s_waitcnt vmcnt(0)
	ds_write2_b32 v47, v3, v5 offset0:2 offset1:3
	ds_write2_b32 v47, v2, v10 offset1:1
	buffer_store_dword v6, v0, s[0:3], 0 offen
	buffer_store_dword v7, v0, s[0:3], 0 offen offset:4
	buffer_store_dword v8, v0, s[0:3], 0 offen offset:8
	;; [unrolled: 1-line block ×3, first 2 shown]
	buffer_store_dword v2, v1, s[0:3], 0 offen
	buffer_store_dword v10, v1, s[0:3], 0 offen offset:4
	buffer_store_dword v3, v1, s[0:3], 0 offen offset:8
	;; [unrolled: 1-line block ×3, first 2 shown]
.LBB1_326:                              ;   in Loop: Header=BB1_221 Depth=2
	s_or_b64 exec, exec, s[6:7]
	buffer_load_dword v29, off, s[0:3], 0 offset:12
	buffer_load_dword v28, off, s[0:3], 0 offset:28
	s_waitcnt vmcnt(0)
	v_cmp_lt_i32_e32 vcc, v29, v28
	s_and_saveexec_b64 s[6:7], vcc
	s_cbranch_execz .LBB1_538
; %bb.327:                              ;   in Loop: Header=BB1_221 Depth=2
	s_load_dwordx2 s[8:9], s[64:65], 0x50
	v_readfirstlane_b32 s4, v58
	v_mov_b32_e32 v5, 0
	v_mov_b32_e32 v6, 0
	v_cmp_eq_u32_e64 s[4:5], s4, v58
	s_and_saveexec_b64 s[16:17], s[4:5]
	s_cbranch_execz .LBB1_333
; %bb.328:                              ;   in Loop: Header=BB1_221 Depth=2
	s_waitcnt lgkmcnt(0)
	global_load_dwordx2 v[2:3], v45, s[8:9] offset:24 glc
	s_waitcnt vmcnt(0)
	buffer_wbinvl1_vol
	global_load_dwordx2 v[0:1], v45, s[8:9] offset:40
	global_load_dwordx2 v[5:6], v45, s[8:9]
	s_waitcnt vmcnt(1)
	v_and_b32_e32 v0, v0, v2
	v_and_b32_e32 v1, v1, v3
	v_mul_lo_u32 v1, v1, 24
	v_mul_hi_u32 v7, v0, 24
	v_mul_lo_u32 v0, v0, 24
	v_add_u32_e32 v1, v7, v1
	s_waitcnt vmcnt(0)
	v_add_co_u32_e32 v0, vcc, v5, v0
	v_addc_co_u32_e32 v1, vcc, v6, v1, vcc
	global_load_dwordx2 v[0:1], v[0:1], off glc
	s_waitcnt vmcnt(0)
	global_atomic_cmpswap_x2 v[5:6], v45, v[0:3], s[8:9] offset:24 glc
	s_waitcnt vmcnt(0)
	buffer_wbinvl1_vol
	v_cmp_ne_u64_e32 vcc, v[5:6], v[2:3]
	s_and_saveexec_b64 s[18:19], vcc
	s_cbranch_execz .LBB1_332
; %bb.329:                              ;   in Loop: Header=BB1_221 Depth=2
	s_mov_b64 s[20:21], 0
.LBB1_330:                              ;   Parent Loop BB1_13 Depth=1
                                        ;     Parent Loop BB1_221 Depth=2
                                        ; =>    This Inner Loop Header: Depth=3
	s_sleep 1
	global_load_dwordx2 v[0:1], v45, s[8:9] offset:40
	global_load_dwordx2 v[7:8], v45, s[8:9]
	v_mov_b32_e32 v2, v5
	v_mov_b32_e32 v3, v6
	s_waitcnt vmcnt(1)
	v_and_b32_e32 v0, v0, v2
	s_waitcnt vmcnt(0)
	v_mad_u64_u32 v[5:6], s[22:23], v0, 24, v[7:8]
	v_and_b32_e32 v1, v1, v3
	v_mov_b32_e32 v0, v6
	v_mad_u64_u32 v[0:1], s[22:23], v1, 24, v[0:1]
	v_mov_b32_e32 v6, v0
	global_load_dwordx2 v[0:1], v[5:6], off glc
	s_waitcnt vmcnt(0)
	global_atomic_cmpswap_x2 v[5:6], v45, v[0:3], s[8:9] offset:24 glc
	s_waitcnt vmcnt(0)
	buffer_wbinvl1_vol
	v_cmp_eq_u64_e32 vcc, v[5:6], v[2:3]
	s_or_b64 s[20:21], vcc, s[20:21]
	s_andn2_b64 exec, exec, s[20:21]
	s_cbranch_execnz .LBB1_330
; %bb.331:                              ;   in Loop: Header=BB1_221 Depth=2
	s_or_b64 exec, exec, s[20:21]
.LBB1_332:                              ;   in Loop: Header=BB1_221 Depth=2
	s_or_b64 exec, exec, s[18:19]
.LBB1_333:                              ;   in Loop: Header=BB1_221 Depth=2
	s_or_b64 exec, exec, s[16:17]
	s_waitcnt lgkmcnt(0)
	global_load_dwordx2 v[7:8], v45, s[8:9] offset:40
	global_load_dwordx4 v[0:3], v45, s[8:9]
	v_readfirstlane_b32 s17, v6
	v_readfirstlane_b32 s16, v5
	s_mov_b64 s[18:19], exec
	s_waitcnt vmcnt(1)
	v_readfirstlane_b32 s20, v7
	v_readfirstlane_b32 s21, v8
	s_and_b64 s[20:21], s[20:21], s[16:17]
	s_mul_i32 s22, s21, 24
	s_mul_hi_u32 s23, s20, 24
	s_mul_i32 s24, s20, 24
	s_add_i32 s22, s23, s22
	v_mov_b32_e32 v6, s22
	s_waitcnt vmcnt(0)
	v_add_co_u32_e32 v5, vcc, s24, v0
	v_addc_co_u32_e32 v6, vcc, v1, v6, vcc
	s_and_saveexec_b64 s[22:23], s[4:5]
	s_cbranch_execz .LBB1_335
; %bb.334:                              ;   in Loop: Header=BB1_221 Depth=2
	v_mov_b32_e32 v52, s19
	v_mov_b32_e32 v51, s18
	global_store_dwordx4 v[5:6], v[51:54], off offset:8
.LBB1_335:                              ;   in Loop: Header=BB1_221 Depth=2
	s_or_b64 exec, exec, s[22:23]
	s_lshl_b64 s[18:19], s[20:21], 12
	v_mov_b32_e32 v7, s19
	v_add_co_u32_e32 v9, vcc, s18, v2
	v_addc_co_u32_e32 v10, vcc, v3, v7, vcc
	s_mov_b32 s53, s52
	s_mov_b32 s54, s52
	;; [unrolled: 1-line block ×3, first 2 shown]
	v_mov_b32_e32 v11, s52
	v_lshlrev_b32_e32 v30, 6, v58
	v_mov_b32_e32 v44, v45
	v_mov_b32_e32 v46, v45
	v_readfirstlane_b32 s18, v9
	v_readfirstlane_b32 s19, v10
	v_mov_b32_e32 v12, s53
	v_mov_b32_e32 v13, s54
	;; [unrolled: 1-line block ×3, first 2 shown]
	s_nop 1
	global_store_dwordx4 v30, v[43:46], s[18:19]
	global_store_dwordx4 v30, v[11:14], s[18:19] offset:16
	global_store_dwordx4 v30, v[11:14], s[18:19] offset:32
	;; [unrolled: 1-line block ×3, first 2 shown]
	s_and_saveexec_b64 s[18:19], s[4:5]
	s_cbranch_execz .LBB1_343
; %bb.336:                              ;   in Loop: Header=BB1_221 Depth=2
	global_load_dwordx2 v[13:14], v45, s[8:9] offset:32 glc
	global_load_dwordx2 v[2:3], v45, s[8:9] offset:40
	v_mov_b32_e32 v11, s16
	v_mov_b32_e32 v12, s17
	s_waitcnt vmcnt(0)
	v_and_b32_e32 v2, s16, v2
	v_and_b32_e32 v3, s17, v3
	v_mul_lo_u32 v3, v3, 24
	v_mul_hi_u32 v7, v2, 24
	v_mul_lo_u32 v2, v2, 24
	v_add_u32_e32 v3, v7, v3
	v_add_co_u32_e32 v7, vcc, v0, v2
	v_addc_co_u32_e32 v8, vcc, v1, v3, vcc
	global_store_dwordx2 v[7:8], v[13:14], off
	s_waitcnt vmcnt(0)
	global_atomic_cmpswap_x2 v[2:3], v45, v[11:14], s[8:9] offset:32 glc
	s_waitcnt vmcnt(0)
	v_cmp_ne_u64_e32 vcc, v[2:3], v[13:14]
	s_and_saveexec_b64 s[20:21], vcc
	s_cbranch_execz .LBB1_339
; %bb.337:                              ;   in Loop: Header=BB1_221 Depth=2
	s_mov_b64 s[22:23], 0
.LBB1_338:                              ;   Parent Loop BB1_13 Depth=1
                                        ;     Parent Loop BB1_221 Depth=2
                                        ; =>    This Inner Loop Header: Depth=3
	s_sleep 1
	global_store_dwordx2 v[7:8], v[2:3], off
	v_mov_b32_e32 v0, s16
	v_mov_b32_e32 v1, s17
	s_waitcnt vmcnt(0)
	global_atomic_cmpswap_x2 v[0:1], v45, v[0:3], s[8:9] offset:32 glc
	s_waitcnt vmcnt(0)
	v_cmp_eq_u64_e32 vcc, v[0:1], v[2:3]
	v_mov_b32_e32 v3, v1
	s_or_b64 s[22:23], vcc, s[22:23]
	v_mov_b32_e32 v2, v0
	s_andn2_b64 exec, exec, s[22:23]
	s_cbranch_execnz .LBB1_338
.LBB1_339:                              ;   in Loop: Header=BB1_221 Depth=2
	s_or_b64 exec, exec, s[20:21]
	global_load_dwordx2 v[0:1], v45, s[8:9] offset:16
	s_mov_b64 s[22:23], exec
	v_mbcnt_lo_u32_b32 v2, s22, 0
	v_mbcnt_hi_u32_b32 v2, s23, v2
	v_cmp_eq_u32_e32 vcc, 0, v2
	s_and_saveexec_b64 s[20:21], vcc
	s_cbranch_execz .LBB1_341
; %bb.340:                              ;   in Loop: Header=BB1_221 Depth=2
	s_bcnt1_i32_b64 s22, s[22:23]
	v_mov_b32_e32 v44, s22
	s_waitcnt vmcnt(0)
	global_atomic_add_x2 v[0:1], v[44:45], off offset:8
.LBB1_341:                              ;   in Loop: Header=BB1_221 Depth=2
	s_or_b64 exec, exec, s[20:21]
	s_waitcnt vmcnt(0)
	global_load_dwordx2 v[2:3], v[0:1], off offset:16
	s_waitcnt vmcnt(0)
	v_cmp_eq_u64_e32 vcc, 0, v[2:3]
	s_cbranch_vccnz .LBB1_343
; %bb.342:                              ;   in Loop: Header=BB1_221 Depth=2
	global_load_dword v44, v[0:1], off offset:24
	s_waitcnt vmcnt(0)
	v_readfirstlane_b32 s20, v44
	s_and_b32 m0, s20, 0xffffff
	global_store_dwordx2 v[2:3], v[44:45], off
	s_sendmsg sendmsg(MSG_INTERRUPT)
.LBB1_343:                              ;   in Loop: Header=BB1_221 Depth=2
	s_or_b64 exec, exec, s[18:19]
	v_add_co_u32_e32 v0, vcc, v9, v30
	v_addc_co_u32_e32 v1, vcc, 0, v10, vcc
	s_branch .LBB1_347
.LBB1_344:                              ;   in Loop: Header=BB1_347 Depth=3
	s_or_b64 exec, exec, s[18:19]
	v_readfirstlane_b32 s18, v2
	s_cmp_eq_u32 s18, 0
	s_cbranch_scc1 .LBB1_346
; %bb.345:                              ;   in Loop: Header=BB1_347 Depth=3
	s_sleep 1
	s_cbranch_execnz .LBB1_347
	s_branch .LBB1_421
.LBB1_346:                              ;   in Loop: Header=BB1_221 Depth=2
	s_branch .LBB1_421
.LBB1_347:                              ;   Parent Loop BB1_13 Depth=1
                                        ;     Parent Loop BB1_221 Depth=2
                                        ; =>    This Inner Loop Header: Depth=3
	v_mov_b32_e32 v2, 1
	s_and_saveexec_b64 s[18:19], s[4:5]
	s_cbranch_execz .LBB1_344
; %bb.348:                              ;   in Loop: Header=BB1_347 Depth=3
	global_load_dword v2, v[5:6], off offset:20 glc
	s_waitcnt vmcnt(0)
	buffer_wbinvl1_vol
	v_and_b32_e32 v2, 1, v2
	s_branch .LBB1_344
.LBB1_349:                              ;   in Loop: Header=BB1_221 Depth=2
	v_cmp_gt_u32_e64 s[4:5], v13, v16
	s_andn2_saveexec_b64 s[6:7], s[6:7]
	s_cbranch_execz .LBB1_280
.LBB1_350:                              ;   in Loop: Header=BB1_221 Depth=2
	v_cmp_ne_u32_e32 vcc, v5, v6
                                        ; implicit-def: $sgpr8_sgpr9
	s_and_saveexec_b64 s[16:17], vcc
	s_xor_b64 s[16:17], exec, s[16:17]
; %bb.351:                              ;   in Loop: Header=BB1_221 Depth=2
	v_cmp_gt_u32_e64 s[8:9], v5, v6
; %bb.352:                              ;   in Loop: Header=BB1_221 Depth=2
	s_andn2_saveexec_b64 s[16:17], s[16:17]
; %bb.353:                              ;   in Loop: Header=BB1_221 Depth=2
	v_cmp_ge_u32_e32 vcc, v0, v1
	s_andn2_b64 s[8:9], s[8:9], exec
	s_and_b64 s[18:19], vcc, exec
	s_or_b64 s[8:9], s[8:9], s[18:19]
; %bb.354:                              ;   in Loop: Header=BB1_221 Depth=2
	s_or_b64 exec, exec, s[16:17]
	s_andn2_b64 s[4:5], s[4:5], exec
	s_and_b64 s[8:9], s[8:9], exec
	s_or_b64 s[4:5], s[4:5], s[8:9]
	s_or_b64 exec, exec, s[6:7]
	s_and_saveexec_b64 s[6:7], s[4:5]
	s_cbranch_execnz .LBB1_281
	s_branch .LBB1_282
.LBB1_355:                              ;   in Loop: Header=BB1_221 Depth=2
	v_cmp_gt_u32_e64 s[4:5], v13, v15
	s_andn2_saveexec_b64 s[6:7], s[6:7]
	s_cbranch_execz .LBB1_284
.LBB1_356:                              ;   in Loop: Header=BB1_221 Depth=2
	buffer_load_dword v0, off, s[0:3], 0 offset:4
                                        ; implicit-def: $sgpr8_sgpr9
	s_waitcnt vmcnt(0)
	v_cmp_ne_u32_e32 vcc, v0, v7
	s_and_saveexec_b64 s[16:17], vcc
	s_xor_b64 s[16:17], exec, s[16:17]
; %bb.357:                              ;   in Loop: Header=BB1_221 Depth=2
	v_cmp_gt_u32_e64 s[8:9], v0, v7
; %bb.358:                              ;   in Loop: Header=BB1_221 Depth=2
	s_andn2_saveexec_b64 s[16:17], s[16:17]
	s_cbranch_execz .LBB1_360
; %bb.359:                              ;   in Loop: Header=BB1_221 Depth=2
	buffer_load_dword v0, off, s[0:3], 0 offset:8
	s_andn2_b64 s[8:9], s[8:9], exec
	s_waitcnt vmcnt(0)
	v_cmp_ge_u32_e32 vcc, v0, v2
	s_and_b64 s[18:19], vcc, exec
	s_or_b64 s[8:9], s[8:9], s[18:19]
.LBB1_360:                              ;   in Loop: Header=BB1_221 Depth=2
	s_or_b64 exec, exec, s[16:17]
	s_andn2_b64 s[4:5], s[4:5], exec
	s_and_b64 s[8:9], s[8:9], exec
	s_or_b64 s[4:5], s[4:5], s[8:9]
	s_or_b64 exec, exec, s[6:7]
	s_and_saveexec_b64 s[6:7], s[4:5]
	s_cbranch_execnz .LBB1_285
	s_branch .LBB1_286
.LBB1_361:                              ;   in Loop: Header=BB1_221 Depth=2
	v_cmp_gt_u32_e64 s[4:5], v13, v14
                                        ; implicit-def: $vgpr0_vgpr1_vgpr2_vgpr3
                                        ; implicit-def: $vgpr5_vgpr6_vgpr7_vgpr8
	s_andn2_saveexec_b64 s[6:7], s[6:7]
	s_cbranch_execz .LBB1_288
.LBB1_362:                              ;   in Loop: Header=BB1_221 Depth=2
	buffer_load_dword v0, off, s[0:3], 0 offset:4
                                        ; implicit-def: $sgpr8_sgpr9
	s_waitcnt vmcnt(0)
	v_cmp_ne_u32_e32 vcc, v0, v8
	s_and_saveexec_b64 s[16:17], vcc
	s_xor_b64 s[16:17], exec, s[16:17]
; %bb.363:                              ;   in Loop: Header=BB1_221 Depth=2
	v_cmp_gt_u32_e64 s[8:9], v0, v8
                                        ; implicit-def: $vgpr0_vgpr1_vgpr2_vgpr3
; %bb.364:                              ;   in Loop: Header=BB1_221 Depth=2
	s_andn2_saveexec_b64 s[16:17], s[16:17]
	s_cbranch_execz .LBB1_366
; %bb.365:                              ;   in Loop: Header=BB1_221 Depth=2
	buffer_load_dword v0, off, s[0:3], 0 offset:8
	s_andn2_b64 s[8:9], s[8:9], exec
	s_waitcnt vmcnt(0)
	v_cmp_ge_u32_e32 vcc, v0, v3
	s_and_b64 s[18:19], vcc, exec
	s_or_b64 s[8:9], s[8:9], s[18:19]
.LBB1_366:                              ;   in Loop: Header=BB1_221 Depth=2
	s_or_b64 exec, exec, s[16:17]
	s_andn2_b64 s[4:5], s[4:5], exec
	s_and_b64 s[8:9], s[8:9], exec
	s_or_b64 s[4:5], s[4:5], s[8:9]
	s_or_b64 exec, exec, s[6:7]
	s_and_saveexec_b64 s[6:7], s[4:5]
	s_cbranch_execnz .LBB1_289
	s_branch .LBB1_290
.LBB1_367:                              ;   in Loop: Header=BB1_221 Depth=2
	v_cmp_gt_u32_e64 s[4:5], v0, v13
	s_andn2_saveexec_b64 s[6:7], s[6:7]
	s_cbranch_execz .LBB1_292
.LBB1_368:                              ;   in Loop: Header=BB1_221 Depth=2
	buffer_load_dword v1, off, s[0:3], 0 offset:4
	buffer_load_dword v2, off, s[0:3], 0 offset:20
                                        ; implicit-def: $sgpr8_sgpr9
	s_waitcnt vmcnt(0)
	v_cmp_ne_u32_e32 vcc, v2, v1
	s_and_saveexec_b64 s[16:17], vcc
	s_xor_b64 s[16:17], exec, s[16:17]
; %bb.369:                              ;   in Loop: Header=BB1_221 Depth=2
	v_cmp_gt_u32_e64 s[8:9], v2, v1
; %bb.370:                              ;   in Loop: Header=BB1_221 Depth=2
	s_andn2_saveexec_b64 s[16:17], s[16:17]
	s_cbranch_execz .LBB1_372
; %bb.371:                              ;   in Loop: Header=BB1_221 Depth=2
	buffer_load_dword v1, off, s[0:3], 0 offset:8
	buffer_load_dword v2, off, s[0:3], 0 offset:24
	s_andn2_b64 s[8:9], s[8:9], exec
	s_waitcnt vmcnt(0)
	v_cmp_ge_u32_e32 vcc, v2, v1
	s_and_b64 s[18:19], vcc, exec
	s_or_b64 s[8:9], s[8:9], s[18:19]
.LBB1_372:                              ;   in Loop: Header=BB1_221 Depth=2
	s_or_b64 exec, exec, s[16:17]
	s_andn2_b64 s[4:5], s[4:5], exec
	s_and_b64 s[8:9], s[8:9], exec
	s_or_b64 s[4:5], s[4:5], s[8:9]
	s_or_b64 exec, exec, s[6:7]
	s_and_saveexec_b64 s[6:7], s[4:5]
	s_cbranch_execnz .LBB1_293
	s_branch .LBB1_294
.LBB1_373:                              ;   in Loop: Header=BB1_221 Depth=2
	v_cmp_gt_u32_e64 s[4:5], v0, v1
	s_andn2_saveexec_b64 s[6:7], s[6:7]
	s_cbranch_execz .LBB1_296
.LBB1_374:                              ;   in Loop: Header=BB1_221 Depth=2
	buffer_load_dword v1, off, s[0:3], 0 offset:20
	buffer_load_dword v2, off, s[0:3], 0 offset:36
                                        ; implicit-def: $sgpr8_sgpr9
	s_waitcnt vmcnt(0)
	v_cmp_ne_u32_e32 vcc, v1, v2
	s_and_saveexec_b64 s[16:17], vcc
	s_xor_b64 s[16:17], exec, s[16:17]
; %bb.375:                              ;   in Loop: Header=BB1_221 Depth=2
	v_cmp_gt_u32_e64 s[8:9], v1, v2
; %bb.376:                              ;   in Loop: Header=BB1_221 Depth=2
	s_andn2_saveexec_b64 s[16:17], s[16:17]
	s_cbranch_execz .LBB1_378
; %bb.377:                              ;   in Loop: Header=BB1_221 Depth=2
	buffer_load_dword v1, off, s[0:3], 0 offset:24
	buffer_load_dword v2, off, s[0:3], 0 offset:40
	s_andn2_b64 s[8:9], s[8:9], exec
	s_waitcnt vmcnt(0)
	v_cmp_ge_u32_e32 vcc, v1, v2
	s_and_b64 s[18:19], vcc, exec
	s_or_b64 s[8:9], s[8:9], s[18:19]
.LBB1_378:                              ;   in Loop: Header=BB1_221 Depth=2
	s_or_b64 exec, exec, s[16:17]
	s_andn2_b64 s[4:5], s[4:5], exec
	s_and_b64 s[8:9], s[8:9], exec
	s_or_b64 s[4:5], s[4:5], s[8:9]
	s_or_b64 exec, exec, s[6:7]
	s_and_saveexec_b64 s[6:7], s[4:5]
	s_cbranch_execnz .LBB1_297
	s_branch .LBB1_298
.LBB1_379:                              ;   in Loop: Header=BB1_221 Depth=2
	v_cmp_gt_u32_e64 s[4:5], v0, v1
	s_andn2_saveexec_b64 s[6:7], s[6:7]
	s_cbranch_execz .LBB1_300
.LBB1_380:                              ;   in Loop: Header=BB1_221 Depth=2
	buffer_load_dword v0, off, s[0:3], 0 offset:20
	buffer_load_dword v1, off, s[0:3], 0 offset:52
                                        ; implicit-def: $sgpr8_sgpr9
	s_waitcnt vmcnt(0)
	v_cmp_ne_u32_e32 vcc, v0, v1
	s_and_saveexec_b64 s[16:17], vcc
	s_xor_b64 s[16:17], exec, s[16:17]
; %bb.381:                              ;   in Loop: Header=BB1_221 Depth=2
	v_cmp_gt_u32_e64 s[8:9], v0, v1
; %bb.382:                              ;   in Loop: Header=BB1_221 Depth=2
	s_andn2_saveexec_b64 s[16:17], s[16:17]
	s_cbranch_execz .LBB1_384
; %bb.383:                              ;   in Loop: Header=BB1_221 Depth=2
	buffer_load_dword v0, off, s[0:3], 0 offset:24
	buffer_load_dword v1, off, s[0:3], 0 offset:56
	s_andn2_b64 s[8:9], s[8:9], exec
	s_waitcnt vmcnt(0)
	v_cmp_ge_u32_e32 vcc, v0, v1
	s_and_b64 s[18:19], vcc, exec
	s_or_b64 s[8:9], s[8:9], s[18:19]
.LBB1_384:                              ;   in Loop: Header=BB1_221 Depth=2
	s_or_b64 exec, exec, s[16:17]
	s_andn2_b64 s[4:5], s[4:5], exec
	s_and_b64 s[8:9], s[8:9], exec
	s_or_b64 s[4:5], s[4:5], s[8:9]
	s_or_b64 exec, exec, s[6:7]
	s_and_saveexec_b64 s[6:7], s[4:5]
	s_cbranch_execnz .LBB1_301
	s_branch .LBB1_302
.LBB1_385:                              ;   in Loop: Header=BB1_221 Depth=2
	v_cmp_gt_u32_e64 s[4:5], v1, v0
	s_andn2_saveexec_b64 s[6:7], s[6:7]
	s_cbranch_execz .LBB1_304
.LBB1_386:                              ;   in Loop: Header=BB1_221 Depth=2
	buffer_load_dword v0, off, s[0:3], 0 offset:4
	buffer_load_dword v2, off, s[0:3], 0 offset:36
                                        ; implicit-def: $sgpr8_sgpr9
	s_waitcnt vmcnt(0)
	v_cmp_ne_u32_e32 vcc, v2, v0
	s_and_saveexec_b64 s[16:17], vcc
	s_xor_b64 s[16:17], exec, s[16:17]
; %bb.387:                              ;   in Loop: Header=BB1_221 Depth=2
	v_cmp_gt_u32_e64 s[8:9], v2, v0
; %bb.388:                              ;   in Loop: Header=BB1_221 Depth=2
	s_andn2_saveexec_b64 s[16:17], s[16:17]
	s_cbranch_execz .LBB1_390
; %bb.389:                              ;   in Loop: Header=BB1_221 Depth=2
	buffer_load_dword v0, off, s[0:3], 0 offset:8
	buffer_load_dword v2, off, s[0:3], 0 offset:40
	s_andn2_b64 s[8:9], s[8:9], exec
	s_waitcnt vmcnt(0)
	v_cmp_ge_u32_e32 vcc, v2, v0
	s_and_b64 s[18:19], vcc, exec
	s_or_b64 s[8:9], s[8:9], s[18:19]
.LBB1_390:                              ;   in Loop: Header=BB1_221 Depth=2
	s_or_b64 exec, exec, s[16:17]
	s_andn2_b64 s[4:5], s[4:5], exec
	s_and_b64 s[8:9], s[8:9], exec
	s_or_b64 s[4:5], s[4:5], s[8:9]
	s_or_b64 exec, exec, s[6:7]
	s_and_saveexec_b64 s[6:7], s[4:5]
	s_cbranch_execnz .LBB1_305
	s_branch .LBB1_306
.LBB1_391:                              ;   in Loop: Header=BB1_221 Depth=2
	v_cmp_gt_u32_e64 s[4:5], v1, v0
	s_andn2_saveexec_b64 s[6:7], s[6:7]
	s_cbranch_execz .LBB1_308
.LBB1_392:                              ;   in Loop: Header=BB1_221 Depth=2
	buffer_load_dword v0, off, s[0:3], 0 offset:20
	buffer_load_dword v2, off, s[0:3], 0 offset:36
                                        ; implicit-def: $sgpr8_sgpr9
	s_waitcnt vmcnt(0)
	v_cmp_ne_u32_e32 vcc, v2, v0
	s_and_saveexec_b64 s[16:17], vcc
	s_xor_b64 s[16:17], exec, s[16:17]
; %bb.393:                              ;   in Loop: Header=BB1_221 Depth=2
	v_cmp_gt_u32_e64 s[8:9], v2, v0
; %bb.394:                              ;   in Loop: Header=BB1_221 Depth=2
	s_andn2_saveexec_b64 s[16:17], s[16:17]
	s_cbranch_execz .LBB1_396
; %bb.395:                              ;   in Loop: Header=BB1_221 Depth=2
	buffer_load_dword v0, off, s[0:3], 0 offset:24
	buffer_load_dword v2, off, s[0:3], 0 offset:40
	s_andn2_b64 s[8:9], s[8:9], exec
	s_waitcnt vmcnt(0)
	v_cmp_ge_u32_e32 vcc, v2, v0
	s_and_b64 s[18:19], vcc, exec
	s_or_b64 s[8:9], s[8:9], s[18:19]
.LBB1_396:                              ;   in Loop: Header=BB1_221 Depth=2
	s_or_b64 exec, exec, s[16:17]
	s_andn2_b64 s[4:5], s[4:5], exec
	s_and_b64 s[8:9], s[8:9], exec
	s_or_b64 s[4:5], s[4:5], s[8:9]
	s_or_b64 exec, exec, s[6:7]
	s_and_saveexec_b64 s[6:7], s[4:5]
	s_cbranch_execnz .LBB1_309
	s_branch .LBB1_310
.LBB1_397:                              ;   in Loop: Header=BB1_221 Depth=2
	v_cmp_gt_u32_e64 s[4:5], v1, v0
	s_andn2_saveexec_b64 s[6:7], s[6:7]
	s_cbranch_execz .LBB1_312
.LBB1_398:                              ;   in Loop: Header=BB1_221 Depth=2
	buffer_load_dword v1, off, s[0:3], 0 offset:36
	buffer_load_dword v2, off, s[0:3], 0 offset:52
                                        ; implicit-def: $sgpr8_sgpr9
	s_waitcnt vmcnt(0)
	v_cmp_ne_u32_e32 vcc, v1, v2
	s_and_saveexec_b64 s[16:17], vcc
	s_xor_b64 s[16:17], exec, s[16:17]
; %bb.399:                              ;   in Loop: Header=BB1_221 Depth=2
	v_cmp_gt_u32_e64 s[8:9], v1, v2
; %bb.400:                              ;   in Loop: Header=BB1_221 Depth=2
	s_andn2_saveexec_b64 s[16:17], s[16:17]
	s_cbranch_execz .LBB1_402
; %bb.401:                              ;   in Loop: Header=BB1_221 Depth=2
	buffer_load_dword v1, off, s[0:3], 0 offset:40
	buffer_load_dword v2, off, s[0:3], 0 offset:56
	s_andn2_b64 s[8:9], s[8:9], exec
	s_waitcnt vmcnt(0)
	v_cmp_ge_u32_e32 vcc, v1, v2
	s_and_b64 s[18:19], vcc, exec
	s_or_b64 s[8:9], s[8:9], s[18:19]
.LBB1_402:                              ;   in Loop: Header=BB1_221 Depth=2
	s_or_b64 exec, exec, s[16:17]
	s_andn2_b64 s[4:5], s[4:5], exec
	s_and_b64 s[8:9], s[8:9], exec
	s_or_b64 s[4:5], s[4:5], s[8:9]
	s_or_b64 exec, exec, s[6:7]
	s_and_saveexec_b64 s[6:7], s[4:5]
	s_cbranch_execnz .LBB1_313
	s_branch .LBB1_314
.LBB1_403:                              ;   in Loop: Header=BB1_221 Depth=2
	v_cmp_gt_u32_e64 s[4:5], v0, v1
	s_andn2_saveexec_b64 s[6:7], s[6:7]
	s_cbranch_execz .LBB1_316
.LBB1_404:                              ;   in Loop: Header=BB1_221 Depth=2
	buffer_load_dword v1, off, s[0:3], 0 offset:4
	buffer_load_dword v2, off, s[0:3], 0 offset:52
                                        ; implicit-def: $sgpr8_sgpr9
	s_waitcnt vmcnt(0)
	v_cmp_ne_u32_e32 vcc, v2, v1
	s_and_saveexec_b64 s[16:17], vcc
	s_xor_b64 s[16:17], exec, s[16:17]
; %bb.405:                              ;   in Loop: Header=BB1_221 Depth=2
	v_cmp_gt_u32_e64 s[8:9], v2, v1
; %bb.406:                              ;   in Loop: Header=BB1_221 Depth=2
	s_andn2_saveexec_b64 s[16:17], s[16:17]
	s_cbranch_execz .LBB1_408
; %bb.407:                              ;   in Loop: Header=BB1_221 Depth=2
	buffer_load_dword v1, off, s[0:3], 0 offset:8
	buffer_load_dword v2, off, s[0:3], 0 offset:56
	s_andn2_b64 s[8:9], s[8:9], exec
	s_waitcnt vmcnt(0)
	v_cmp_ge_u32_e32 vcc, v2, v1
	s_and_b64 s[18:19], vcc, exec
	s_or_b64 s[8:9], s[8:9], s[18:19]
.LBB1_408:                              ;   in Loop: Header=BB1_221 Depth=2
	s_or_b64 exec, exec, s[16:17]
	s_andn2_b64 s[4:5], s[4:5], exec
	s_and_b64 s[8:9], s[8:9], exec
	s_or_b64 s[4:5], s[4:5], s[8:9]
	s_or_b64 exec, exec, s[6:7]
	s_and_saveexec_b64 s[6:7], s[4:5]
	s_cbranch_execnz .LBB1_317
	s_branch .LBB1_318
.LBB1_409:                              ;   in Loop: Header=BB1_221 Depth=2
	v_cmp_gt_u32_e64 s[4:5], v0, v1
	s_andn2_saveexec_b64 s[6:7], s[6:7]
	s_cbranch_execz .LBB1_320
.LBB1_410:                              ;   in Loop: Header=BB1_221 Depth=2
	buffer_load_dword v1, off, s[0:3], 0 offset:20
	buffer_load_dword v2, off, s[0:3], 0 offset:52
                                        ; implicit-def: $sgpr8_sgpr9
	s_waitcnt vmcnt(0)
	v_cmp_ne_u32_e32 vcc, v2, v1
	s_and_saveexec_b64 s[16:17], vcc
	s_xor_b64 s[16:17], exec, s[16:17]
; %bb.411:                              ;   in Loop: Header=BB1_221 Depth=2
	v_cmp_gt_u32_e64 s[8:9], v2, v1
; %bb.412:                              ;   in Loop: Header=BB1_221 Depth=2
	s_andn2_saveexec_b64 s[16:17], s[16:17]
	s_cbranch_execz .LBB1_414
; %bb.413:                              ;   in Loop: Header=BB1_221 Depth=2
	buffer_load_dword v1, off, s[0:3], 0 offset:24
	buffer_load_dword v2, off, s[0:3], 0 offset:56
	s_andn2_b64 s[8:9], s[8:9], exec
	s_waitcnt vmcnt(0)
	v_cmp_ge_u32_e32 vcc, v2, v1
	s_and_b64 s[18:19], vcc, exec
	s_or_b64 s[8:9], s[8:9], s[18:19]
.LBB1_414:                              ;   in Loop: Header=BB1_221 Depth=2
	s_or_b64 exec, exec, s[16:17]
	s_andn2_b64 s[4:5], s[4:5], exec
	s_and_b64 s[8:9], s[8:9], exec
	s_or_b64 s[4:5], s[4:5], s[8:9]
	s_or_b64 exec, exec, s[6:7]
	s_and_saveexec_b64 s[6:7], s[4:5]
	s_cbranch_execnz .LBB1_321
	s_branch .LBB1_322
.LBB1_415:                              ;   in Loop: Header=BB1_221 Depth=2
	v_cmp_gt_u32_e64 s[4:5], v0, v1
	s_andn2_saveexec_b64 s[6:7], s[6:7]
	s_cbranch_execz .LBB1_324
.LBB1_416:                              ;   in Loop: Header=BB1_221 Depth=2
	buffer_load_dword v0, off, s[0:3], 0 offset:36
	buffer_load_dword v1, off, s[0:3], 0 offset:52
                                        ; implicit-def: $sgpr8_sgpr9
	s_waitcnt vmcnt(0)
	v_cmp_ne_u32_e32 vcc, v1, v0
	s_and_saveexec_b64 s[16:17], vcc
	s_xor_b64 s[16:17], exec, s[16:17]
; %bb.417:                              ;   in Loop: Header=BB1_221 Depth=2
	v_cmp_gt_u32_e64 s[8:9], v1, v0
; %bb.418:                              ;   in Loop: Header=BB1_221 Depth=2
	s_andn2_saveexec_b64 s[16:17], s[16:17]
	s_cbranch_execz .LBB1_420
; %bb.419:                              ;   in Loop: Header=BB1_221 Depth=2
	buffer_load_dword v0, off, s[0:3], 0 offset:40
	buffer_load_dword v1, off, s[0:3], 0 offset:56
	s_andn2_b64 s[8:9], s[8:9], exec
	s_waitcnt vmcnt(0)
	v_cmp_ge_u32_e32 vcc, v1, v0
	s_and_b64 s[18:19], vcc, exec
	s_or_b64 s[8:9], s[8:9], s[18:19]
.LBB1_420:                              ;   in Loop: Header=BB1_221 Depth=2
	s_or_b64 exec, exec, s[16:17]
	s_andn2_b64 s[4:5], s[4:5], exec
	s_and_b64 s[8:9], s[8:9], exec
	s_or_b64 s[4:5], s[4:5], s[8:9]
	s_or_b64 exec, exec, s[6:7]
	s_and_saveexec_b64 s[6:7], s[4:5]
	s_cbranch_execnz .LBB1_325
	s_branch .LBB1_326
.LBB1_421:                              ;   in Loop: Header=BB1_221 Depth=2
	global_load_dwordx2 v[0:1], v[0:1], off
	s_and_saveexec_b64 s[18:19], s[4:5]
	s_cbranch_execz .LBB1_425
; %bb.422:                              ;   in Loop: Header=BB1_221 Depth=2
	global_load_dwordx2 v[2:3], v45, s[8:9] offset:40
	global_load_dwordx2 v[9:10], v45, s[8:9] offset:24 glc
	global_load_dwordx2 v[5:6], v45, s[8:9]
	s_waitcnt vmcnt(2)
	v_readfirstlane_b32 s20, v2
	v_readfirstlane_b32 s21, v3
	s_add_u32 s22, s20, 1
	s_addc_u32 s23, s21, 0
	s_add_u32 s4, s22, s16
	s_addc_u32 s5, s23, s17
	s_cmp_eq_u64 s[4:5], 0
	s_cselect_b32 s5, s23, s5
	s_cselect_b32 s4, s22, s4
	s_and_b64 s[16:17], s[4:5], s[20:21]
	s_mul_i32 s17, s17, 24
	s_mul_hi_u32 s20, s16, 24
	s_mul_i32 s16, s16, 24
	s_add_i32 s17, s20, s17
	v_mov_b32_e32 v3, s17
	s_waitcnt vmcnt(0)
	v_add_co_u32_e32 v2, vcc, s16, v5
	v_addc_co_u32_e32 v3, vcc, v6, v3, vcc
	v_mov_b32_e32 v7, s4
	global_store_dwordx2 v[2:3], v[9:10], off
	v_mov_b32_e32 v8, s5
	s_waitcnt vmcnt(0)
	global_atomic_cmpswap_x2 v[7:8], v45, v[7:10], s[8:9] offset:24 glc
	s_waitcnt vmcnt(0)
	v_cmp_ne_u64_e32 vcc, v[7:8], v[9:10]
	s_and_b64 exec, exec, vcc
	s_cbranch_execz .LBB1_425
; %bb.423:                              ;   in Loop: Header=BB1_221 Depth=2
	s_mov_b64 s[16:17], 0
.LBB1_424:                              ;   Parent Loop BB1_13 Depth=1
                                        ;     Parent Loop BB1_221 Depth=2
                                        ; =>    This Inner Loop Header: Depth=3
	s_sleep 1
	global_store_dwordx2 v[2:3], v[7:8], off
	v_mov_b32_e32 v5, s4
	v_mov_b32_e32 v6, s5
	s_waitcnt vmcnt(0)
	global_atomic_cmpswap_x2 v[5:6], v45, v[5:8], s[8:9] offset:24 glc
	s_waitcnt vmcnt(0)
	v_cmp_eq_u64_e32 vcc, v[5:6], v[7:8]
	v_mov_b32_e32 v8, v6
	s_or_b64 s[16:17], vcc, s[16:17]
	v_mov_b32_e32 v7, v5
	s_andn2_b64 exec, exec, s[16:17]
	s_cbranch_execnz .LBB1_424
.LBB1_425:                              ;   in Loop: Header=BB1_221 Depth=2
	s_or_b64 exec, exec, s[18:19]
	s_and_b64 vcc, exec, s[72:73]
	s_cbranch_vccz .LBB1_511
; %bb.426:                              ;   in Loop: Header=BB1_221 Depth=2
	s_waitcnt vmcnt(0)
	v_and_b32_e32 v5, -3, v0
	v_mov_b32_e32 v6, v1
	s_mov_b64 s[18:19], 53
	s_getpc_b64 s[16:17]
	s_add_u32 s16, s16, .str.4@rel32@lo+4
	s_addc_u32 s17, s17, .str.4@rel32@hi+12
	s_branch .LBB1_428
.LBB1_427:                              ;   in Loop: Header=BB1_428 Depth=3
	s_or_b64 exec, exec, s[24:25]
	s_sub_u32 s18, s18, s20
	s_subb_u32 s19, s19, s21
	s_add_u32 s16, s16, s20
	s_addc_u32 s17, s17, s21
	s_cmp_lg_u64 s[18:19], 0
	s_cbranch_scc0 .LBB1_510
.LBB1_428:                              ;   Parent Loop BB1_13 Depth=1
                                        ;     Parent Loop BB1_221 Depth=2
                                        ; =>    This Loop Header: Depth=3
                                        ;         Child Loop BB1_431 Depth 4
                                        ;         Child Loop BB1_439 Depth 4
	;; [unrolled: 1-line block ×11, first 2 shown]
	v_cmp_lt_u64_e64 s[4:5], s[18:19], 56
	v_cmp_gt_u64_e64 s[22:23], s[18:19], 7
	s_and_b64 s[4:5], s[4:5], exec
	s_cselect_b32 s21, s19, 0
	s_cselect_b32 s20, s18, 56
	s_add_u32 s4, s16, 8
	s_addc_u32 s5, s17, 0
	s_and_b64 vcc, exec, s[22:23]
	s_cbranch_vccnz .LBB1_432
; %bb.429:                              ;   in Loop: Header=BB1_428 Depth=3
	s_cmp_eq_u64 s[18:19], 0
	s_cbranch_scc1 .LBB1_433
; %bb.430:                              ;   in Loop: Header=BB1_428 Depth=3
	s_waitcnt vmcnt(0)
	v_mov_b32_e32 v7, 0
	s_lshl_b64 s[4:5], s[20:21], 3
	s_mov_b64 s[22:23], 0
	v_mov_b32_e32 v8, 0
	s_mov_b64 s[24:25], s[16:17]
.LBB1_431:                              ;   Parent Loop BB1_13 Depth=1
                                        ;     Parent Loop BB1_221 Depth=2
                                        ;       Parent Loop BB1_428 Depth=3
                                        ; =>      This Inner Loop Header: Depth=4
	global_load_ubyte v2, v45, s[24:25]
	s_waitcnt vmcnt(0)
	v_and_b32_e32 v44, 0xffff, v2
	v_lshlrev_b64 v[2:3], s22, v[44:45]
	s_add_u32 s22, s22, 8
	s_addc_u32 s23, s23, 0
	s_add_u32 s24, s24, 1
	s_addc_u32 s25, s25, 0
	v_or_b32_e32 v7, v2, v7
	s_cmp_lg_u32 s4, s22
	v_or_b32_e32 v8, v3, v8
	s_cbranch_scc1 .LBB1_431
	s_branch .LBB1_434
.LBB1_432:                              ;   in Loop: Header=BB1_428 Depth=3
	s_mov_b32 s26, 0
	s_branch .LBB1_435
.LBB1_433:                              ;   in Loop: Header=BB1_428 Depth=3
	s_waitcnt vmcnt(0)
	v_mov_b32_e32 v7, 0
	v_mov_b32_e32 v8, 0
.LBB1_434:                              ;   in Loop: Header=BB1_428 Depth=3
	s_mov_b64 s[4:5], s[16:17]
	s_mov_b32 s26, 0
	s_cbranch_execnz .LBB1_436
.LBB1_435:                              ;   in Loop: Header=BB1_428 Depth=3
	global_load_dwordx2 v[7:8], v45, s[16:17]
	s_add_i32 s26, s20, -8
.LBB1_436:                              ;   in Loop: Header=BB1_428 Depth=3
	s_add_u32 s22, s4, 8
	s_addc_u32 s23, s5, 0
	s_cmp_gt_u32 s26, 7
	s_cbranch_scc1 .LBB1_440
; %bb.437:                              ;   in Loop: Header=BB1_428 Depth=3
	s_cmp_eq_u32 s26, 0
	s_cbranch_scc1 .LBB1_441
; %bb.438:                              ;   in Loop: Header=BB1_428 Depth=3
	v_mov_b32_e32 v9, 0
	s_mov_b64 s[22:23], 0
	v_mov_b32_e32 v10, 0
	s_mov_b64 s[24:25], 0
.LBB1_439:                              ;   Parent Loop BB1_13 Depth=1
                                        ;     Parent Loop BB1_221 Depth=2
                                        ;       Parent Loop BB1_428 Depth=3
                                        ; =>      This Inner Loop Header: Depth=4
	s_add_u32 s28, s4, s24
	s_addc_u32 s29, s5, s25
	global_load_ubyte v2, v45, s[28:29]
	s_add_u32 s24, s24, 1
	s_addc_u32 s25, s25, 0
	s_waitcnt vmcnt(0)
	v_and_b32_e32 v44, 0xffff, v2
	v_lshlrev_b64 v[2:3], s22, v[44:45]
	s_add_u32 s22, s22, 8
	s_addc_u32 s23, s23, 0
	v_or_b32_e32 v9, v2, v9
	s_cmp_lg_u32 s26, s24
	v_or_b32_e32 v10, v3, v10
	s_cbranch_scc1 .LBB1_439
	s_branch .LBB1_442
.LBB1_440:                              ;   in Loop: Header=BB1_428 Depth=3
                                        ; implicit-def: $vgpr9_vgpr10
	s_mov_b32 s27, 0
	s_branch .LBB1_443
.LBB1_441:                              ;   in Loop: Header=BB1_428 Depth=3
	v_mov_b32_e32 v9, 0
	v_mov_b32_e32 v10, 0
.LBB1_442:                              ;   in Loop: Header=BB1_428 Depth=3
	s_mov_b64 s[22:23], s[4:5]
	s_mov_b32 s27, 0
	s_cbranch_execnz .LBB1_444
.LBB1_443:                              ;   in Loop: Header=BB1_428 Depth=3
	global_load_dwordx2 v[9:10], v45, s[4:5]
	s_add_i32 s27, s26, -8
.LBB1_444:                              ;   in Loop: Header=BB1_428 Depth=3
	s_add_u32 s4, s22, 8
	s_addc_u32 s5, s23, 0
	s_cmp_gt_u32 s27, 7
	s_cbranch_scc1 .LBB1_448
; %bb.445:                              ;   in Loop: Header=BB1_428 Depth=3
	s_cmp_eq_u32 s27, 0
	s_cbranch_scc1 .LBB1_449
; %bb.446:                              ;   in Loop: Header=BB1_428 Depth=3
	v_mov_b32_e32 v11, 0
	s_mov_b64 s[4:5], 0
	v_mov_b32_e32 v12, 0
	s_mov_b64 s[24:25], 0
.LBB1_447:                              ;   Parent Loop BB1_13 Depth=1
                                        ;     Parent Loop BB1_221 Depth=2
                                        ;       Parent Loop BB1_428 Depth=3
                                        ; =>      This Inner Loop Header: Depth=4
	s_add_u32 s28, s22, s24
	s_addc_u32 s29, s23, s25
	global_load_ubyte v2, v45, s[28:29]
	s_add_u32 s24, s24, 1
	s_addc_u32 s25, s25, 0
	s_waitcnt vmcnt(0)
	v_and_b32_e32 v44, 0xffff, v2
	v_lshlrev_b64 v[2:3], s4, v[44:45]
	s_add_u32 s4, s4, 8
	s_addc_u32 s5, s5, 0
	v_or_b32_e32 v11, v2, v11
	s_cmp_lg_u32 s27, s24
	v_or_b32_e32 v12, v3, v12
	s_cbranch_scc1 .LBB1_447
	s_branch .LBB1_450
.LBB1_448:                              ;   in Loop: Header=BB1_428 Depth=3
	s_mov_b32 s26, 0
	s_branch .LBB1_451
.LBB1_449:                              ;   in Loop: Header=BB1_428 Depth=3
	v_mov_b32_e32 v11, 0
	v_mov_b32_e32 v12, 0
.LBB1_450:                              ;   in Loop: Header=BB1_428 Depth=3
	s_mov_b64 s[4:5], s[22:23]
	s_mov_b32 s26, 0
	s_cbranch_execnz .LBB1_452
.LBB1_451:                              ;   in Loop: Header=BB1_428 Depth=3
	global_load_dwordx2 v[11:12], v45, s[22:23]
	s_add_i32 s26, s27, -8
.LBB1_452:                              ;   in Loop: Header=BB1_428 Depth=3
	s_add_u32 s22, s4, 8
	s_addc_u32 s23, s5, 0
	s_cmp_gt_u32 s26, 7
	s_cbranch_scc1 .LBB1_456
; %bb.453:                              ;   in Loop: Header=BB1_428 Depth=3
	s_cmp_eq_u32 s26, 0
	s_cbranch_scc1 .LBB1_457
; %bb.454:                              ;   in Loop: Header=BB1_428 Depth=3
	v_mov_b32_e32 v13, 0
	s_mov_b64 s[22:23], 0
	v_mov_b32_e32 v14, 0
	s_mov_b64 s[24:25], 0
.LBB1_455:                              ;   Parent Loop BB1_13 Depth=1
                                        ;     Parent Loop BB1_221 Depth=2
                                        ;       Parent Loop BB1_428 Depth=3
                                        ; =>      This Inner Loop Header: Depth=4
	s_add_u32 s28, s4, s24
	s_addc_u32 s29, s5, s25
	global_load_ubyte v2, v45, s[28:29]
	s_add_u32 s24, s24, 1
	s_addc_u32 s25, s25, 0
	s_waitcnt vmcnt(0)
	v_and_b32_e32 v44, 0xffff, v2
	v_lshlrev_b64 v[2:3], s22, v[44:45]
	s_add_u32 s22, s22, 8
	s_addc_u32 s23, s23, 0
	v_or_b32_e32 v13, v2, v13
	s_cmp_lg_u32 s26, s24
	v_or_b32_e32 v14, v3, v14
	s_cbranch_scc1 .LBB1_455
	s_branch .LBB1_458
.LBB1_456:                              ;   in Loop: Header=BB1_428 Depth=3
                                        ; implicit-def: $vgpr13_vgpr14
	s_mov_b32 s27, 0
	s_branch .LBB1_459
.LBB1_457:                              ;   in Loop: Header=BB1_428 Depth=3
	v_mov_b32_e32 v13, 0
	v_mov_b32_e32 v14, 0
.LBB1_458:                              ;   in Loop: Header=BB1_428 Depth=3
	s_mov_b64 s[22:23], s[4:5]
	s_mov_b32 s27, 0
	s_cbranch_execnz .LBB1_460
.LBB1_459:                              ;   in Loop: Header=BB1_428 Depth=3
	global_load_dwordx2 v[13:14], v45, s[4:5]
	s_add_i32 s27, s26, -8
.LBB1_460:                              ;   in Loop: Header=BB1_428 Depth=3
	s_add_u32 s4, s22, 8
	s_addc_u32 s5, s23, 0
	s_cmp_gt_u32 s27, 7
	s_cbranch_scc1 .LBB1_464
; %bb.461:                              ;   in Loop: Header=BB1_428 Depth=3
	s_cmp_eq_u32 s27, 0
	s_cbranch_scc1 .LBB1_465
; %bb.462:                              ;   in Loop: Header=BB1_428 Depth=3
	v_mov_b32_e32 v15, 0
	s_mov_b64 s[4:5], 0
	v_mov_b32_e32 v16, 0
	s_mov_b64 s[24:25], 0
.LBB1_463:                              ;   Parent Loop BB1_13 Depth=1
                                        ;     Parent Loop BB1_221 Depth=2
                                        ;       Parent Loop BB1_428 Depth=3
                                        ; =>      This Inner Loop Header: Depth=4
	s_add_u32 s28, s22, s24
	s_addc_u32 s29, s23, s25
	global_load_ubyte v2, v45, s[28:29]
	s_add_u32 s24, s24, 1
	s_addc_u32 s25, s25, 0
	s_waitcnt vmcnt(0)
	v_and_b32_e32 v44, 0xffff, v2
	v_lshlrev_b64 v[2:3], s4, v[44:45]
	s_add_u32 s4, s4, 8
	s_addc_u32 s5, s5, 0
	v_or_b32_e32 v15, v2, v15
	s_cmp_lg_u32 s27, s24
	v_or_b32_e32 v16, v3, v16
	s_cbranch_scc1 .LBB1_463
	s_branch .LBB1_466
.LBB1_464:                              ;   in Loop: Header=BB1_428 Depth=3
	s_mov_b32 s26, 0
	s_branch .LBB1_467
.LBB1_465:                              ;   in Loop: Header=BB1_428 Depth=3
	v_mov_b32_e32 v15, 0
	v_mov_b32_e32 v16, 0
.LBB1_466:                              ;   in Loop: Header=BB1_428 Depth=3
	s_mov_b64 s[4:5], s[22:23]
	s_mov_b32 s26, 0
	s_cbranch_execnz .LBB1_468
.LBB1_467:                              ;   in Loop: Header=BB1_428 Depth=3
	global_load_dwordx2 v[15:16], v45, s[22:23]
	s_add_i32 s26, s27, -8
.LBB1_468:                              ;   in Loop: Header=BB1_428 Depth=3
	s_add_u32 s22, s4, 8
	s_addc_u32 s23, s5, 0
	s_cmp_gt_u32 s26, 7
	s_cbranch_scc1 .LBB1_472
; %bb.469:                              ;   in Loop: Header=BB1_428 Depth=3
	s_cmp_eq_u32 s26, 0
	s_cbranch_scc1 .LBB1_473
; %bb.470:                              ;   in Loop: Header=BB1_428 Depth=3
	v_mov_b32_e32 v17, 0
	s_mov_b64 s[22:23], 0
	v_mov_b32_e32 v18, 0
	s_mov_b64 s[24:25], 0
.LBB1_471:                              ;   Parent Loop BB1_13 Depth=1
                                        ;     Parent Loop BB1_221 Depth=2
                                        ;       Parent Loop BB1_428 Depth=3
                                        ; =>      This Inner Loop Header: Depth=4
	s_add_u32 s28, s4, s24
	s_addc_u32 s29, s5, s25
	global_load_ubyte v2, v45, s[28:29]
	s_add_u32 s24, s24, 1
	s_addc_u32 s25, s25, 0
	s_waitcnt vmcnt(0)
	v_and_b32_e32 v44, 0xffff, v2
	v_lshlrev_b64 v[2:3], s22, v[44:45]
	s_add_u32 s22, s22, 8
	s_addc_u32 s23, s23, 0
	v_or_b32_e32 v17, v2, v17
	s_cmp_lg_u32 s26, s24
	v_or_b32_e32 v18, v3, v18
	s_cbranch_scc1 .LBB1_471
	s_branch .LBB1_474
.LBB1_472:                              ;   in Loop: Header=BB1_428 Depth=3
                                        ; implicit-def: $vgpr17_vgpr18
	s_mov_b32 s27, 0
	s_branch .LBB1_475
.LBB1_473:                              ;   in Loop: Header=BB1_428 Depth=3
	v_mov_b32_e32 v17, 0
	v_mov_b32_e32 v18, 0
.LBB1_474:                              ;   in Loop: Header=BB1_428 Depth=3
	s_mov_b64 s[22:23], s[4:5]
	s_mov_b32 s27, 0
	s_cbranch_execnz .LBB1_476
.LBB1_475:                              ;   in Loop: Header=BB1_428 Depth=3
	global_load_dwordx2 v[17:18], v45, s[4:5]
	s_add_i32 s27, s26, -8
.LBB1_476:                              ;   in Loop: Header=BB1_428 Depth=3
	s_cmp_gt_u32 s27, 7
	s_cbranch_scc1 .LBB1_480
; %bb.477:                              ;   in Loop: Header=BB1_428 Depth=3
	s_cmp_eq_u32 s27, 0
	s_cbranch_scc1 .LBB1_481
; %bb.478:                              ;   in Loop: Header=BB1_428 Depth=3
	v_mov_b32_e32 v19, 0
	s_mov_b64 s[4:5], 0
	v_mov_b32_e32 v20, 0
	s_mov_b64 s[24:25], s[22:23]
.LBB1_479:                              ;   Parent Loop BB1_13 Depth=1
                                        ;     Parent Loop BB1_221 Depth=2
                                        ;       Parent Loop BB1_428 Depth=3
                                        ; =>      This Inner Loop Header: Depth=4
	global_load_ubyte v2, v45, s[24:25]
	s_add_i32 s27, s27, -1
	s_waitcnt vmcnt(0)
	v_and_b32_e32 v44, 0xffff, v2
	v_lshlrev_b64 v[2:3], s4, v[44:45]
	s_add_u32 s4, s4, 8
	s_addc_u32 s5, s5, 0
	s_add_u32 s24, s24, 1
	s_addc_u32 s25, s25, 0
	v_or_b32_e32 v19, v2, v19
	s_cmp_lg_u32 s27, 0
	v_or_b32_e32 v20, v3, v20
	s_cbranch_scc1 .LBB1_479
	s_branch .LBB1_482
.LBB1_480:                              ;   in Loop: Header=BB1_428 Depth=3
	s_branch .LBB1_483
.LBB1_481:                              ;   in Loop: Header=BB1_428 Depth=3
	v_mov_b32_e32 v19, 0
	v_mov_b32_e32 v20, 0
.LBB1_482:                              ;   in Loop: Header=BB1_428 Depth=3
	s_cbranch_execnz .LBB1_484
.LBB1_483:                              ;   in Loop: Header=BB1_428 Depth=3
	global_load_dwordx2 v[19:20], v45, s[22:23]
.LBB1_484:                              ;   in Loop: Header=BB1_428 Depth=3
	v_readfirstlane_b32 s4, v58
	v_mov_b32_e32 v2, 0
	v_mov_b32_e32 v3, 0
	v_cmp_eq_u32_e64 s[4:5], s4, v58
	s_and_saveexec_b64 s[22:23], s[4:5]
	s_cbranch_execz .LBB1_490
; %bb.485:                              ;   in Loop: Header=BB1_428 Depth=3
	global_load_dwordx2 v[23:24], v45, s[8:9] offset:24 glc
	s_waitcnt vmcnt(0)
	buffer_wbinvl1_vol
	global_load_dwordx2 v[2:3], v45, s[8:9] offset:40
	global_load_dwordx2 v[21:22], v45, s[8:9]
	s_waitcnt vmcnt(1)
	v_and_b32_e32 v2, v2, v23
	v_and_b32_e32 v3, v3, v24
	v_mul_lo_u32 v3, v3, 24
	v_mul_hi_u32 v31, v2, 24
	v_mul_lo_u32 v2, v2, 24
	v_add_u32_e32 v3, v31, v3
	s_waitcnt vmcnt(0)
	v_add_co_u32_e32 v2, vcc, v21, v2
	v_addc_co_u32_e32 v3, vcc, v22, v3, vcc
	global_load_dwordx2 v[21:22], v[2:3], off glc
	s_waitcnt vmcnt(0)
	global_atomic_cmpswap_x2 v[2:3], v45, v[21:24], s[8:9] offset:24 glc
	s_waitcnt vmcnt(0)
	buffer_wbinvl1_vol
	v_cmp_ne_u64_e32 vcc, v[2:3], v[23:24]
	s_and_saveexec_b64 s[24:25], vcc
	s_cbranch_execz .LBB1_489
; %bb.486:                              ;   in Loop: Header=BB1_428 Depth=3
	s_mov_b64 s[26:27], 0
.LBB1_487:                              ;   Parent Loop BB1_13 Depth=1
                                        ;     Parent Loop BB1_221 Depth=2
                                        ;       Parent Loop BB1_428 Depth=3
                                        ; =>      This Inner Loop Header: Depth=4
	s_sleep 1
	global_load_dwordx2 v[21:22], v45, s[8:9] offset:40
	global_load_dwordx2 v[31:32], v45, s[8:9]
	v_mov_b32_e32 v24, v3
	v_mov_b32_e32 v23, v2
	s_waitcnt vmcnt(1)
	v_and_b32_e32 v2, v21, v23
	s_waitcnt vmcnt(0)
	v_mad_u64_u32 v[2:3], s[28:29], v2, 24, v[31:32]
	v_and_b32_e32 v21, v22, v24
	v_mad_u64_u32 v[21:22], s[28:29], v21, 24, v[3:4]
	v_mov_b32_e32 v3, v21
	global_load_dwordx2 v[21:22], v[2:3], off glc
	s_waitcnt vmcnt(0)
	global_atomic_cmpswap_x2 v[2:3], v45, v[21:24], s[8:9] offset:24 glc
	s_waitcnt vmcnt(0)
	buffer_wbinvl1_vol
	v_cmp_eq_u64_e32 vcc, v[2:3], v[23:24]
	s_or_b64 s[26:27], vcc, s[26:27]
	s_andn2_b64 exec, exec, s[26:27]
	s_cbranch_execnz .LBB1_487
; %bb.488:                              ;   in Loop: Header=BB1_428 Depth=3
	s_or_b64 exec, exec, s[26:27]
.LBB1_489:                              ;   in Loop: Header=BB1_428 Depth=3
	s_or_b64 exec, exec, s[24:25]
.LBB1_490:                              ;   in Loop: Header=BB1_428 Depth=3
	s_or_b64 exec, exec, s[22:23]
	v_readfirstlane_b32 s23, v3
	v_readfirstlane_b32 s22, v2
	global_load_dwordx4 v[21:24], v45, s[8:9]
	global_load_dwordx2 v[2:3], v45, s[8:9] offset:40
	s_waitcnt vmcnt(0)
	v_readfirstlane_b32 s24, v2
	v_readfirstlane_b32 s25, v3
	s_and_b64 s[24:25], s[24:25], s[22:23]
	s_mul_i32 s26, s25, 24
	s_mul_hi_u32 s27, s24, 24
	s_add_i32 s26, s27, s26
	s_mul_i32 s27, s24, 24
	v_add_co_u32_e32 v2, vcc, s27, v21
	v_mov_b32_e32 v3, s26
	v_addc_co_u32_e32 v3, vcc, v22, v3, vcc
	s_mov_b64 s[26:27], exec
	s_and_saveexec_b64 s[28:29], s[4:5]
	s_cbranch_execz .LBB1_492
; %bb.491:                              ;   in Loop: Header=BB1_428 Depth=3
	v_mov_b32_e32 v52, s27
	v_mov_b32_e32 v51, s26
	global_store_dwordx4 v[2:3], v[51:54], off offset:8
.LBB1_492:                              ;   in Loop: Header=BB1_428 Depth=3
	s_or_b64 exec, exec, s[28:29]
	s_lshl_b64 s[24:25], s[24:25], 12
	v_add_co_u32_e32 v23, vcc, s24, v23
	v_mov_b32_e32 v31, s25
	v_cmp_gt_u64_e64 s[24:25], s[18:19], 56
	v_and_b32_e32 v5, 0xffffff1f, v5
	s_and_b64 s[24:25], s[24:25], exec
	s_cselect_b32 s24, 0, 2
	s_lshl_b32 s25, s20, 2
	s_add_i32 s25, s25, 28
	v_addc_co_u32_e32 v24, vcc, v24, v31, vcc
	s_and_b32 s25, s25, 0x1e0
	v_or_b32_e32 v5, s24, v5
	v_or_b32_e32 v5, s25, v5
	v_readfirstlane_b32 s24, v23
	v_readfirstlane_b32 s25, v24
	s_nop 4
	global_store_dwordx4 v30, v[5:8], s[24:25]
	global_store_dwordx4 v30, v[9:12], s[24:25] offset:16
	global_store_dwordx4 v30, v[13:16], s[24:25] offset:32
	;; [unrolled: 1-line block ×3, first 2 shown]
	s_and_saveexec_b64 s[24:25], s[4:5]
	s_cbranch_execz .LBB1_500
; %bb.493:                              ;   in Loop: Header=BB1_428 Depth=3
	global_load_dwordx2 v[13:14], v45, s[8:9] offset:32 glc
	global_load_dwordx2 v[5:6], v45, s[8:9] offset:40
	v_mov_b32_e32 v11, s22
	v_mov_b32_e32 v12, s23
	s_waitcnt vmcnt(0)
	v_readfirstlane_b32 s26, v5
	v_readfirstlane_b32 s27, v6
	s_and_b64 s[26:27], s[26:27], s[22:23]
	s_mul_i32 s27, s27, 24
	s_mul_hi_u32 s28, s26, 24
	s_mul_i32 s26, s26, 24
	s_add_i32 s27, s28, s27
	v_mov_b32_e32 v5, s27
	v_add_co_u32_e32 v9, vcc, s26, v21
	v_addc_co_u32_e32 v10, vcc, v22, v5, vcc
	global_store_dwordx2 v[9:10], v[13:14], off
	s_waitcnt vmcnt(0)
	global_atomic_cmpswap_x2 v[7:8], v45, v[11:14], s[8:9] offset:32 glc
	s_waitcnt vmcnt(0)
	v_cmp_ne_u64_e32 vcc, v[7:8], v[13:14]
	s_and_saveexec_b64 s[26:27], vcc
	s_cbranch_execz .LBB1_496
; %bb.494:                              ;   in Loop: Header=BB1_428 Depth=3
	s_mov_b64 s[28:29], 0
.LBB1_495:                              ;   Parent Loop BB1_13 Depth=1
                                        ;     Parent Loop BB1_221 Depth=2
                                        ;       Parent Loop BB1_428 Depth=3
                                        ; =>      This Inner Loop Header: Depth=4
	s_sleep 1
	global_store_dwordx2 v[9:10], v[7:8], off
	v_mov_b32_e32 v5, s22
	v_mov_b32_e32 v6, s23
	s_waitcnt vmcnt(0)
	global_atomic_cmpswap_x2 v[5:6], v45, v[5:8], s[8:9] offset:32 glc
	s_waitcnt vmcnt(0)
	v_cmp_eq_u64_e32 vcc, v[5:6], v[7:8]
	v_mov_b32_e32 v8, v6
	s_or_b64 s[28:29], vcc, s[28:29]
	v_mov_b32_e32 v7, v5
	s_andn2_b64 exec, exec, s[28:29]
	s_cbranch_execnz .LBB1_495
.LBB1_496:                              ;   in Loop: Header=BB1_428 Depth=3
	s_or_b64 exec, exec, s[26:27]
	global_load_dwordx2 v[5:6], v45, s[8:9] offset:16
	s_mov_b64 s[28:29], exec
	v_mbcnt_lo_u32_b32 v7, s28, 0
	v_mbcnt_hi_u32_b32 v7, s29, v7
	v_cmp_eq_u32_e32 vcc, 0, v7
	s_and_saveexec_b64 s[26:27], vcc
	s_cbranch_execz .LBB1_498
; %bb.497:                              ;   in Loop: Header=BB1_428 Depth=3
	s_bcnt1_i32_b64 s28, s[28:29]
	v_mov_b32_e32 v44, s28
	s_waitcnt vmcnt(0)
	global_atomic_add_x2 v[5:6], v[44:45], off offset:8
.LBB1_498:                              ;   in Loop: Header=BB1_428 Depth=3
	s_or_b64 exec, exec, s[26:27]
	s_waitcnt vmcnt(0)
	global_load_dwordx2 v[7:8], v[5:6], off offset:16
	s_waitcnt vmcnt(0)
	v_cmp_eq_u64_e32 vcc, 0, v[7:8]
	s_cbranch_vccnz .LBB1_500
; %bb.499:                              ;   in Loop: Header=BB1_428 Depth=3
	global_load_dword v44, v[5:6], off offset:24
	s_waitcnt vmcnt(0)
	v_readfirstlane_b32 s26, v44
	s_and_b32 m0, s26, 0xffffff
	global_store_dwordx2 v[7:8], v[44:45], off
	s_sendmsg sendmsg(MSG_INTERRUPT)
.LBB1_500:                              ;   in Loop: Header=BB1_428 Depth=3
	s_or_b64 exec, exec, s[24:25]
	v_add_co_u32_e32 v5, vcc, v23, v30
	v_addc_co_u32_e32 v6, vcc, 0, v24, vcc
	s_branch .LBB1_504
.LBB1_501:                              ;   in Loop: Header=BB1_504 Depth=4
	s_or_b64 exec, exec, s[24:25]
	v_readfirstlane_b32 s24, v7
	s_cmp_eq_u32 s24, 0
	s_cbranch_scc1 .LBB1_503
; %bb.502:                              ;   in Loop: Header=BB1_504 Depth=4
	s_sleep 1
	s_cbranch_execnz .LBB1_504
	s_branch .LBB1_506
.LBB1_503:                              ;   in Loop: Header=BB1_428 Depth=3
	s_branch .LBB1_506
.LBB1_504:                              ;   Parent Loop BB1_13 Depth=1
                                        ;     Parent Loop BB1_221 Depth=2
                                        ;       Parent Loop BB1_428 Depth=3
                                        ; =>      This Inner Loop Header: Depth=4
	v_mov_b32_e32 v7, 1
	s_and_saveexec_b64 s[24:25], s[4:5]
	s_cbranch_execz .LBB1_501
; %bb.505:                              ;   in Loop: Header=BB1_504 Depth=4
	global_load_dword v7, v[2:3], off offset:20 glc
	s_waitcnt vmcnt(0)
	buffer_wbinvl1_vol
	v_and_b32_e32 v7, 1, v7
	s_branch .LBB1_501
.LBB1_506:                              ;   in Loop: Header=BB1_428 Depth=3
	global_load_dwordx4 v[5:8], v[5:6], off
	s_and_saveexec_b64 s[24:25], s[4:5]
	s_cbranch_execz .LBB1_427
; %bb.507:                              ;   in Loop: Header=BB1_428 Depth=3
	global_load_dwordx2 v[2:3], v45, s[8:9] offset:40
	global_load_dwordx2 v[11:12], v45, s[8:9] offset:24 glc
	global_load_dwordx2 v[7:8], v45, s[8:9]
	s_waitcnt vmcnt(2)
	v_readfirstlane_b32 s26, v2
	v_readfirstlane_b32 s27, v3
	s_add_u32 s28, s26, 1
	s_addc_u32 s29, s27, 0
	s_add_u32 s4, s28, s22
	s_addc_u32 s5, s29, s23
	s_cmp_eq_u64 s[4:5], 0
	s_cselect_b32 s5, s29, s5
	s_cselect_b32 s4, s28, s4
	s_and_b64 s[22:23], s[4:5], s[26:27]
	s_mul_i32 s23, s23, 24
	s_mul_hi_u32 s26, s22, 24
	s_mul_i32 s22, s22, 24
	s_add_i32 s23, s26, s23
	v_mov_b32_e32 v3, s23
	s_waitcnt vmcnt(0)
	v_add_co_u32_e32 v2, vcc, s22, v7
	v_addc_co_u32_e32 v3, vcc, v8, v3, vcc
	v_mov_b32_e32 v9, s4
	global_store_dwordx2 v[2:3], v[11:12], off
	v_mov_b32_e32 v10, s5
	s_waitcnt vmcnt(0)
	global_atomic_cmpswap_x2 v[9:10], v45, v[9:12], s[8:9] offset:24 glc
	s_waitcnt vmcnt(0)
	v_cmp_ne_u64_e32 vcc, v[9:10], v[11:12]
	s_and_b64 exec, exec, vcc
	s_cbranch_execz .LBB1_427
; %bb.508:                              ;   in Loop: Header=BB1_428 Depth=3
	s_mov_b64 s[22:23], 0
.LBB1_509:                              ;   Parent Loop BB1_13 Depth=1
                                        ;     Parent Loop BB1_221 Depth=2
                                        ;       Parent Loop BB1_428 Depth=3
                                        ; =>      This Inner Loop Header: Depth=4
	s_sleep 1
	global_store_dwordx2 v[2:3], v[9:10], off
	v_mov_b32_e32 v7, s4
	v_mov_b32_e32 v8, s5
	s_waitcnt vmcnt(0)
	global_atomic_cmpswap_x2 v[7:8], v45, v[7:10], s[8:9] offset:24 glc
	s_waitcnt vmcnt(0)
	v_cmp_eq_u64_e32 vcc, v[7:8], v[9:10]
	v_mov_b32_e32 v10, v8
	s_or_b64 s[22:23], vcc, s[22:23]
	v_mov_b32_e32 v9, v7
	s_andn2_b64 exec, exec, s[22:23]
	s_cbranch_execnz .LBB1_509
	s_branch .LBB1_427
.LBB1_510:                              ;   in Loop: Header=BB1_221 Depth=2
	s_branch .LBB1_538
.LBB1_511:                              ;   in Loop: Header=BB1_221 Depth=2
	s_cbranch_execz .LBB1_538
; %bb.512:                              ;   in Loop: Header=BB1_221 Depth=2
	v_readfirstlane_b32 s4, v58
	v_mov_b32_e32 v2, 0
	v_mov_b32_e32 v3, 0
	v_cmp_eq_u32_e64 s[4:5], s4, v58
	s_and_saveexec_b64 s[16:17], s[4:5]
	s_cbranch_execz .LBB1_518
; %bb.513:                              ;   in Loop: Header=BB1_221 Depth=2
	global_load_dwordx2 v[7:8], v45, s[8:9] offset:24 glc
	s_waitcnt vmcnt(0)
	buffer_wbinvl1_vol
	global_load_dwordx2 v[2:3], v45, s[8:9] offset:40
	global_load_dwordx2 v[5:6], v45, s[8:9]
	s_waitcnt vmcnt(1)
	v_and_b32_e32 v2, v2, v7
	v_and_b32_e32 v3, v3, v8
	v_mul_lo_u32 v3, v3, 24
	v_mul_hi_u32 v9, v2, 24
	v_mul_lo_u32 v2, v2, 24
	v_add_u32_e32 v3, v9, v3
	s_waitcnt vmcnt(0)
	v_add_co_u32_e32 v2, vcc, v5, v2
	v_addc_co_u32_e32 v3, vcc, v6, v3, vcc
	global_load_dwordx2 v[5:6], v[2:3], off glc
	s_waitcnt vmcnt(0)
	global_atomic_cmpswap_x2 v[2:3], v45, v[5:8], s[8:9] offset:24 glc
	s_waitcnt vmcnt(0)
	buffer_wbinvl1_vol
	v_cmp_ne_u64_e32 vcc, v[2:3], v[7:8]
	s_and_saveexec_b64 s[18:19], vcc
	s_cbranch_execz .LBB1_517
; %bb.514:                              ;   in Loop: Header=BB1_221 Depth=2
	s_mov_b64 s[20:21], 0
.LBB1_515:                              ;   Parent Loop BB1_13 Depth=1
                                        ;     Parent Loop BB1_221 Depth=2
                                        ; =>    This Inner Loop Header: Depth=3
	s_sleep 1
	global_load_dwordx2 v[5:6], v45, s[8:9] offset:40
	global_load_dwordx2 v[9:10], v45, s[8:9]
	v_mov_b32_e32 v8, v3
	v_mov_b32_e32 v7, v2
	s_waitcnt vmcnt(1)
	v_and_b32_e32 v2, v5, v7
	s_waitcnt vmcnt(0)
	v_mad_u64_u32 v[2:3], s[22:23], v2, 24, v[9:10]
	v_and_b32_e32 v5, v6, v8
	v_mad_u64_u32 v[5:6], s[22:23], v5, 24, v[3:4]
	v_mov_b32_e32 v3, v5
	global_load_dwordx2 v[5:6], v[2:3], off glc
	s_waitcnt vmcnt(0)
	global_atomic_cmpswap_x2 v[2:3], v45, v[5:8], s[8:9] offset:24 glc
	s_waitcnt vmcnt(0)
	buffer_wbinvl1_vol
	v_cmp_eq_u64_e32 vcc, v[2:3], v[7:8]
	s_or_b64 s[20:21], vcc, s[20:21]
	s_andn2_b64 exec, exec, s[20:21]
	s_cbranch_execnz .LBB1_515
; %bb.516:                              ;   in Loop: Header=BB1_221 Depth=2
	s_or_b64 exec, exec, s[20:21]
.LBB1_517:                              ;   in Loop: Header=BB1_221 Depth=2
	s_or_b64 exec, exec, s[18:19]
.LBB1_518:                              ;   in Loop: Header=BB1_221 Depth=2
	s_or_b64 exec, exec, s[16:17]
	global_load_dwordx2 v[9:10], v45, s[8:9] offset:40
	global_load_dwordx4 v[5:8], v45, s[8:9]
	v_readfirstlane_b32 s17, v3
	v_readfirstlane_b32 s16, v2
	s_mov_b64 s[18:19], exec
	s_waitcnt vmcnt(1)
	v_readfirstlane_b32 s20, v9
	v_readfirstlane_b32 s21, v10
	s_and_b64 s[20:21], s[20:21], s[16:17]
	s_mul_i32 s22, s21, 24
	s_mul_hi_u32 s23, s20, 24
	s_mul_i32 s24, s20, 24
	s_add_i32 s22, s23, s22
	v_mov_b32_e32 v2, s22
	s_waitcnt vmcnt(0)
	v_add_co_u32_e32 v9, vcc, s24, v5
	v_addc_co_u32_e32 v10, vcc, v6, v2, vcc
	s_and_saveexec_b64 s[22:23], s[4:5]
	s_cbranch_execz .LBB1_520
; %bb.519:                              ;   in Loop: Header=BB1_221 Depth=2
	v_mov_b32_e32 v52, s19
	v_mov_b32_e32 v51, s18
	global_store_dwordx4 v[9:10], v[51:54], off offset:8
.LBB1_520:                              ;   in Loop: Header=BB1_221 Depth=2
	s_or_b64 exec, exec, s[22:23]
	s_lshl_b64 s[18:19], s[20:21], 12
	v_mov_b32_e32 v2, s19
	v_add_co_u32_e32 v7, vcc, s18, v7
	v_addc_co_u32_e32 v8, vcc, v8, v2, vcc
	v_and_or_b32 v0, v0, s88, 34
	v_mov_b32_e32 v2, v45
	v_mov_b32_e32 v3, v45
	v_readfirstlane_b32 s18, v7
	v_readfirstlane_b32 s19, v8
	s_mov_b32 s53, s52
	s_mov_b32 s54, s52
	;; [unrolled: 1-line block ×3, first 2 shown]
	s_nop 1
	global_store_dwordx4 v30, v[0:3], s[18:19]
	s_nop 0
	v_mov_b32_e32 v0, s52
	v_mov_b32_e32 v1, s53
	;; [unrolled: 1-line block ×4, first 2 shown]
	global_store_dwordx4 v30, v[0:3], s[18:19] offset:16
	global_store_dwordx4 v30, v[0:3], s[18:19] offset:32
	;; [unrolled: 1-line block ×3, first 2 shown]
	s_and_saveexec_b64 s[18:19], s[4:5]
	s_cbranch_execz .LBB1_528
; %bb.521:                              ;   in Loop: Header=BB1_221 Depth=2
	global_load_dwordx2 v[13:14], v45, s[8:9] offset:32 glc
	global_load_dwordx2 v[0:1], v45, s[8:9] offset:40
	v_mov_b32_e32 v11, s16
	v_mov_b32_e32 v12, s17
	s_waitcnt vmcnt(0)
	v_readfirstlane_b32 s20, v0
	v_readfirstlane_b32 s21, v1
	s_and_b64 s[20:21], s[20:21], s[16:17]
	s_mul_i32 s21, s21, 24
	s_mul_hi_u32 s22, s20, 24
	s_mul_i32 s20, s20, 24
	s_add_i32 s21, s22, s21
	v_mov_b32_e32 v0, s21
	v_add_co_u32_e32 v5, vcc, s20, v5
	v_addc_co_u32_e32 v6, vcc, v6, v0, vcc
	global_store_dwordx2 v[5:6], v[13:14], off
	s_waitcnt vmcnt(0)
	global_atomic_cmpswap_x2 v[2:3], v45, v[11:14], s[8:9] offset:32 glc
	s_waitcnt vmcnt(0)
	v_cmp_ne_u64_e32 vcc, v[2:3], v[13:14]
	s_and_saveexec_b64 s[20:21], vcc
	s_cbranch_execz .LBB1_524
; %bb.522:                              ;   in Loop: Header=BB1_221 Depth=2
	s_mov_b64 s[22:23], 0
.LBB1_523:                              ;   Parent Loop BB1_13 Depth=1
                                        ;     Parent Loop BB1_221 Depth=2
                                        ; =>    This Inner Loop Header: Depth=3
	s_sleep 1
	global_store_dwordx2 v[5:6], v[2:3], off
	v_mov_b32_e32 v0, s16
	v_mov_b32_e32 v1, s17
	s_waitcnt vmcnt(0)
	global_atomic_cmpswap_x2 v[0:1], v45, v[0:3], s[8:9] offset:32 glc
	s_waitcnt vmcnt(0)
	v_cmp_eq_u64_e32 vcc, v[0:1], v[2:3]
	v_mov_b32_e32 v3, v1
	s_or_b64 s[22:23], vcc, s[22:23]
	v_mov_b32_e32 v2, v0
	s_andn2_b64 exec, exec, s[22:23]
	s_cbranch_execnz .LBB1_523
.LBB1_524:                              ;   in Loop: Header=BB1_221 Depth=2
	s_or_b64 exec, exec, s[20:21]
	global_load_dwordx2 v[0:1], v45, s[8:9] offset:16
	s_mov_b64 s[22:23], exec
	v_mbcnt_lo_u32_b32 v2, s22, 0
	v_mbcnt_hi_u32_b32 v2, s23, v2
	v_cmp_eq_u32_e32 vcc, 0, v2
	s_and_saveexec_b64 s[20:21], vcc
	s_cbranch_execz .LBB1_526
; %bb.525:                              ;   in Loop: Header=BB1_221 Depth=2
	s_bcnt1_i32_b64 s22, s[22:23]
	v_mov_b32_e32 v44, s22
	s_waitcnt vmcnt(0)
	global_atomic_add_x2 v[0:1], v[44:45], off offset:8
.LBB1_526:                              ;   in Loop: Header=BB1_221 Depth=2
	s_or_b64 exec, exec, s[20:21]
	s_waitcnt vmcnt(0)
	global_load_dwordx2 v[2:3], v[0:1], off offset:16
	s_waitcnt vmcnt(0)
	v_cmp_eq_u64_e32 vcc, 0, v[2:3]
	s_cbranch_vccnz .LBB1_528
; %bb.527:                              ;   in Loop: Header=BB1_221 Depth=2
	global_load_dword v44, v[0:1], off offset:24
	s_waitcnt vmcnt(0)
	v_readfirstlane_b32 s20, v44
	s_and_b32 m0, s20, 0xffffff
	global_store_dwordx2 v[2:3], v[44:45], off
	s_sendmsg sendmsg(MSG_INTERRUPT)
.LBB1_528:                              ;   in Loop: Header=BB1_221 Depth=2
	s_or_b64 exec, exec, s[18:19]
	s_branch .LBB1_532
.LBB1_529:                              ;   in Loop: Header=BB1_532 Depth=3
	s_or_b64 exec, exec, s[18:19]
	v_readfirstlane_b32 s18, v0
	s_cmp_eq_u32 s18, 0
	s_cbranch_scc1 .LBB1_531
; %bb.530:                              ;   in Loop: Header=BB1_532 Depth=3
	s_sleep 1
	s_cbranch_execnz .LBB1_532
	s_branch .LBB1_534
.LBB1_531:                              ;   in Loop: Header=BB1_221 Depth=2
	s_branch .LBB1_534
.LBB1_532:                              ;   Parent Loop BB1_13 Depth=1
                                        ;     Parent Loop BB1_221 Depth=2
                                        ; =>    This Inner Loop Header: Depth=3
	v_mov_b32_e32 v0, 1
	s_and_saveexec_b64 s[18:19], s[4:5]
	s_cbranch_execz .LBB1_529
; %bb.533:                              ;   in Loop: Header=BB1_532 Depth=3
	global_load_dword v0, v[9:10], off offset:20 glc
	s_waitcnt vmcnt(0)
	buffer_wbinvl1_vol
	v_and_b32_e32 v0, 1, v0
	s_branch .LBB1_529
.LBB1_534:                              ;   in Loop: Header=BB1_221 Depth=2
	s_and_b64 exec, exec, s[4:5]
	s_cbranch_execz .LBB1_538
; %bb.535:                              ;   in Loop: Header=BB1_221 Depth=2
	global_load_dwordx2 v[0:1], v45, s[8:9] offset:40
	global_load_dwordx2 v[9:10], v45, s[8:9] offset:24 glc
	global_load_dwordx2 v[2:3], v45, s[8:9]
	s_waitcnt vmcnt(2)
	v_readfirstlane_b32 s18, v0
	v_readfirstlane_b32 s19, v1
	s_add_u32 s20, s18, 1
	s_addc_u32 s21, s19, 0
	s_add_u32 s4, s20, s16
	s_addc_u32 s5, s21, s17
	s_cmp_eq_u64 s[4:5], 0
	s_cselect_b32 s5, s21, s5
	s_cselect_b32 s4, s20, s4
	s_and_b64 s[16:17], s[4:5], s[18:19]
	s_mul_i32 s17, s17, 24
	s_mul_hi_u32 s18, s16, 24
	s_mul_i32 s16, s16, 24
	s_add_i32 s17, s18, s17
	v_mov_b32_e32 v0, s17
	s_waitcnt vmcnt(0)
	v_add_co_u32_e32 v5, vcc, s16, v2
	v_addc_co_u32_e32 v6, vcc, v3, v0, vcc
	v_mov_b32_e32 v7, s4
	global_store_dwordx2 v[5:6], v[9:10], off
	v_mov_b32_e32 v8, s5
	s_waitcnt vmcnt(0)
	global_atomic_cmpswap_x2 v[2:3], v45, v[7:10], s[8:9] offset:24 glc
	s_waitcnt vmcnt(0)
	v_cmp_ne_u64_e32 vcc, v[2:3], v[9:10]
	s_and_b64 exec, exec, vcc
	s_cbranch_execz .LBB1_538
; %bb.536:                              ;   in Loop: Header=BB1_221 Depth=2
	s_mov_b64 s[16:17], 0
.LBB1_537:                              ;   Parent Loop BB1_13 Depth=1
                                        ;     Parent Loop BB1_221 Depth=2
                                        ; =>    This Inner Loop Header: Depth=3
	s_sleep 1
	global_store_dwordx2 v[5:6], v[2:3], off
	v_mov_b32_e32 v0, s4
	v_mov_b32_e32 v1, s5
	s_waitcnt vmcnt(0)
	global_atomic_cmpswap_x2 v[0:1], v45, v[0:3], s[8:9] offset:24 glc
	s_waitcnt vmcnt(0)
	v_cmp_eq_u64_e32 vcc, v[0:1], v[2:3]
	v_mov_b32_e32 v3, v1
	s_or_b64 s[16:17], vcc, s[16:17]
	v_mov_b32_e32 v2, v0
	s_andn2_b64 exec, exec, s[16:17]
	s_cbranch_execnz .LBB1_537
.LBB1_538:                              ;   in Loop: Header=BB1_221 Depth=2
	s_or_b64 exec, exec, s[6:7]
	buffer_load_ubyte v0, off, s[0:3], 0
	v_mov_b32_e32 v2, 0x58
	v_cmp_lt_i32_e32 vcc, 0, v29
	global_store_byte v[25:26], v2, off offset:48
	global_store_dword v[25:26], v45, off offset:52
	s_and_saveexec_b64 s[16:17], vcc
	s_cbranch_execz .LBB1_544
; %bb.539:                              ;   in Loop: Header=BB1_221 Depth=2
	v_cmp_lt_u32_e32 vcc, 3, v29
	s_mov_b64 s[4:5], 0
                                        ; implicit-def: $vgpr1
	s_and_saveexec_b64 s[6:7], vcc
	s_xor_b64 s[18:19], exec, s[6:7]
	s_cbranch_execnz .LBB1_552
; %bb.540:                              ;   in Loop: Header=BB1_221 Depth=2
	s_andn2_saveexec_b64 s[6:7], s[18:19]
	s_cbranch_execnz .LBB1_571
.LBB1_541:                              ;   in Loop: Header=BB1_221 Depth=2
	s_or_b64 exec, exec, s[6:7]
	v_mov_b32_e32 v2, 0x58
	s_and_saveexec_b64 s[6:7], s[4:5]
	s_cbranch_execz .LBB1_543
.LBB1_542:                              ;   in Loop: Header=BB1_221 Depth=2
	s_waitcnt vmcnt(0)
	v_mov_b32_e32 v2, v1
	global_store_byte v[25:26], v1, off offset:48
.LBB1_543:                              ;   in Loop: Header=BB1_221 Depth=2
	s_or_b64 exec, exec, s[6:7]
.LBB1_544:                              ;   in Loop: Header=BB1_221 Depth=2
	s_or_b64 exec, exec, s[16:17]
	s_waitcnt vmcnt(0)
	v_cmp_eq_u16_sdwa s[4:5], v0, v2 src0_sel:BYTE_0 src1_sel:BYTE_0
	v_cmp_ne_u16_sdwa s[8:9], v0, v2 src0_sel:BYTE_0 src1_sel:BYTE_0
	v_mov_b32_e32 v0, 0
	s_and_saveexec_b64 s[6:7], s[8:9]
	s_cbranch_execz .LBB1_550
; %bb.545:                              ;   in Loop: Header=BB1_221 Depth=2
	buffer_load_ubyte v0, off, s[0:3], 0 offset:16
	s_waitcnt vmcnt(0)
	v_cmp_eq_u16_sdwa s[8:9], v0, v2 src0_sel:DWORD src1_sel:BYTE_0
	v_cmp_ne_u16_sdwa s[18:19], v0, v2 src0_sel:DWORD src1_sel:BYTE_0
	v_mov_b32_e32 v0, s45
	s_and_saveexec_b64 s[16:17], s[18:19]
	s_cbranch_execz .LBB1_549
; %bb.546:                              ;   in Loop: Header=BB1_221 Depth=2
	buffer_load_ubyte v0, off, s[0:3], 0 offset:32
	s_waitcnt vmcnt(0)
	v_cmp_eq_u16_sdwa s[18:19], v0, v2 src0_sel:DWORD src1_sel:BYTE_0
	v_cmp_ne_u16_sdwa s[22:23], v0, v2 src0_sel:DWORD src1_sel:BYTE_0
	v_mov_b32_e32 v0, s86
	s_and_saveexec_b64 s[20:21], s[22:23]
	s_cbranch_execz .LBB1_548
; %bb.547:                              ;   in Loop: Header=BB1_221 Depth=2
	buffer_load_ubyte v1, off, s[0:3], 0 offset:48
	s_andn2_b64 s[18:19], s[18:19], exec
	v_mov_b32_e32 v0, s87
	s_waitcnt vmcnt(0)
	v_cmp_eq_u16_sdwa s[22:23], v1, v2 src0_sel:DWORD src1_sel:BYTE_0
	s_and_b64 s[22:23], s[22:23], exec
	s_or_b64 s[18:19], s[18:19], s[22:23]
.LBB1_548:                              ;   in Loop: Header=BB1_221 Depth=2
	s_or_b64 exec, exec, s[20:21]
	s_andn2_b64 s[8:9], s[8:9], exec
	s_and_b64 s[18:19], s[18:19], exec
	s_or_b64 s[8:9], s[8:9], s[18:19]
.LBB1_549:                              ;   in Loop: Header=BB1_221 Depth=2
	s_or_b64 exec, exec, s[16:17]
	s_andn2_b64 s[4:5], s[4:5], exec
	s_and_b64 s[8:9], s[8:9], exec
	s_or_b64 s[4:5], s[4:5], s[8:9]
.LBB1_550:                              ;   in Loop: Header=BB1_221 Depth=2
	s_or_b64 exec, exec, s[6:7]
	s_and_b64 exec, exec, s[4:5]
	s_cbranch_execz .LBB1_220
; %bb.551:                              ;   in Loop: Header=BB1_221 Depth=2
	buffer_load_dword v0, v0, s[0:3], 0 offen offset:8
	s_waitcnt vmcnt(0)
	global_store_dword v[25:26], v0, off offset:52
	s_branch .LBB1_220
.LBB1_552:                              ;   in Loop: Header=BB1_221 Depth=2
	v_cmp_lt_u32_e32 vcc, 5, v29
                                        ; implicit-def: $vgpr1
	s_and_saveexec_b64 s[6:7], vcc
	s_xor_b64 s[20:21], exec, s[6:7]
	s_cbranch_execz .LBB1_568
; %bb.553:                              ;   in Loop: Header=BB1_221 Depth=2
	v_cmp_ne_u32_e32 vcc, 6, v29
                                        ; implicit-def: $vgpr1
	s_and_saveexec_b64 s[6:7], vcc
	s_xor_b64 s[22:23], exec, s[6:7]
	s_cbranch_execz .LBB1_565
; %bb.554:                              ;   in Loop: Header=BB1_221 Depth=2
	v_cmp_gt_i32_e32 vcc, 7, v28
	v_cmp_lt_i32_e64 s[4:5], 6, v28
	s_waitcnt vmcnt(0)
	v_mov_b32_e32 v1, v0
	s_and_saveexec_b64 s[24:25], s[4:5]
	s_cbranch_execz .LBB1_564
; %bb.555:                              ;   in Loop: Header=BB1_221 Depth=2
	buffer_load_dword v1, off, s[0:3], 0 offset:44
	s_waitcnt vmcnt(0)
	v_cmp_eq_u32_e64 s[4:5], 7, v1
	v_cmp_ne_u32_e64 s[6:7], 7, v1
	v_mov_b32_e32 v1, 0x46
	s_and_saveexec_b64 s[26:27], s[6:7]
	s_cbranch_execz .LBB1_563
; %bb.556:                              ;   in Loop: Header=BB1_221 Depth=2
	buffer_load_dword v2, off, s[0:3], 0 offset:8
	buffer_load_dword v3, off, s[0:3], 0 offset:24
	v_mov_b32_e32 v1, 0x46
	s_waitcnt vmcnt(0)
	v_cmp_eq_u32_e64 s[6:7], v2, v3
	v_cmp_ne_u32_e64 s[8:9], v2, v3
	s_and_saveexec_b64 s[28:29], s[8:9]
	s_cbranch_execz .LBB1_562
; %bb.557:                              ;   in Loop: Header=BB1_221 Depth=2
	v_cmp_le_u32_e64 s[8:9], v2, v3
	s_mov_b64 s[40:41], -1
	v_mov_b32_e32 v1, v0
	s_and_saveexec_b64 s[30:31], s[8:9]
	s_cbranch_execz .LBB1_561
; %bb.558:                              ;   in Loop: Header=BB1_221 Depth=2
	v_cmp_gt_u32_e64 s[8:9], v3, v2
	s_mov_b64 s[40:41], 0
	v_mov_b32_e32 v1, v0
	s_and_saveexec_b64 s[42:43], s[8:9]
	s_xor_b64 s[8:9], exec, s[42:43]
	s_cbranch_execz .LBB1_560
; %bb.559:                              ;   in Loop: Header=BB1_221 Depth=2
	buffer_load_ubyte v1, off, s[0:3], 0 offset:16
	s_mov_b64 s[40:41], exec
.LBB1_560:                              ;   in Loop: Header=BB1_221 Depth=2
	s_or_b64 exec, exec, s[8:9]
	s_orn2_b64 s[40:41], s[40:41], exec
.LBB1_561:                              ;   in Loop: Header=BB1_221 Depth=2
	s_or_b64 exec, exec, s[30:31]
	s_andn2_b64 s[6:7], s[6:7], exec
	s_and_b64 s[8:9], s[40:41], exec
	s_or_b64 s[6:7], s[6:7], s[8:9]
.LBB1_562:                              ;   in Loop: Header=BB1_221 Depth=2
	s_or_b64 exec, exec, s[28:29]
	s_andn2_b64 s[4:5], s[4:5], exec
	s_and_b64 s[6:7], s[6:7], exec
	s_or_b64 s[4:5], s[4:5], s[6:7]
.LBB1_563:                              ;   in Loop: Header=BB1_221 Depth=2
	s_or_b64 exec, exec, s[26:27]
	s_andn2_b64 s[6:7], vcc, exec
	s_and_b64 s[4:5], s[4:5], exec
	s_or_b64 vcc, s[6:7], s[4:5]
.LBB1_564:                              ;   in Loop: Header=BB1_221 Depth=2
	s_or_b64 exec, exec, s[24:25]
	s_and_b64 s[4:5], vcc, exec
                                        ; implicit-def: $vgpr28
.LBB1_565:                              ;   in Loop: Header=BB1_221 Depth=2
	s_andn2_saveexec_b64 s[6:7], s[22:23]
	s_cbranch_execz .LBB1_567
; %bb.566:                              ;   in Loop: Header=BB1_221 Depth=2
	v_cmp_gt_i32_e32 vcc, 4, v28
	s_andn2_b64 s[4:5], s[4:5], exec
	s_and_b64 s[8:9], vcc, exec
	s_or_b64 s[4:5], s[4:5], s[8:9]
	s_waitcnt vmcnt(0)
	v_mov_b32_e32 v1, v0
.LBB1_567:                              ;   in Loop: Header=BB1_221 Depth=2
	s_or_b64 exec, exec, s[6:7]
	s_and_b64 s[4:5], s[4:5], exec
                                        ; implicit-def: $vgpr28
.LBB1_568:                              ;   in Loop: Header=BB1_221 Depth=2
	s_andn2_saveexec_b64 s[6:7], s[20:21]
	s_cbranch_execz .LBB1_570
; %bb.569:                              ;   in Loop: Header=BB1_221 Depth=2
	v_cmp_gt_i32_e32 vcc, 3, v28
	s_andn2_b64 s[4:5], s[4:5], exec
	s_and_b64 s[8:9], vcc, exec
	s_or_b64 s[4:5], s[4:5], s[8:9]
	s_waitcnt vmcnt(0)
	v_mov_b32_e32 v1, v0
.LBB1_570:                              ;   in Loop: Header=BB1_221 Depth=2
	s_or_b64 exec, exec, s[6:7]
	s_and_b64 s[4:5], s[4:5], exec
                                        ; implicit-def: $vgpr28
	s_andn2_saveexec_b64 s[6:7], s[18:19]
	s_cbranch_execz .LBB1_541
.LBB1_571:                              ;   in Loop: Header=BB1_221 Depth=2
	v_cmp_eq_u32_e32 vcc, 0, v28
	s_andn2_b64 s[4:5], s[4:5], exec
	s_and_b64 s[8:9], vcc, exec
	s_or_b64 s[4:5], s[4:5], s[8:9]
	s_waitcnt vmcnt(0)
	v_mov_b32_e32 v1, v0
	s_or_b64 exec, exec, s[6:7]
	v_mov_b32_e32 v2, 0x58
	s_and_saveexec_b64 s[6:7], s[4:5]
	s_cbranch_execnz .LBB1_542
	s_branch .LBB1_543
.LBB1_572:                              ;   in Loop: Header=BB1_13 Depth=1
	s_or_b64 exec, exec, s[10:11]
	s_and_saveexec_b64 s[4:5], s[48:49]
	s_cbranch_execz .LBB1_575
; %bb.573:                              ;   in Loop: Header=BB1_13 Depth=1
	buffer_load_dword v1, off, s[0:3], 0 offset:72 ; 4-byte Folded Reload
	buffer_load_dword v2, off, s[0:3], 0 offset:76 ; 4-byte Folded Reload
	s_mov_b64 s[6:7], 0
	s_waitcnt vmcnt(0)
	v_or_b32_e32 v44, 32, v1
	v_mov_b32_e32 v0, v1
	v_mov_b32_e32 v1, v2
.LBB1_574:                              ;   Parent Loop BB1_13 Depth=1
                                        ; =>  This Inner Loop Header: Depth=2
	v_mad_u64_u32 v[2:3], s[8:9], v0, 24, v[33:34]
	v_cmp_le_u64_e32 vcc, s[66:67], v[44:45]
	s_or_b64 s[6:7], vcc, s[6:7]
	v_mov_b32_e32 v0, v3
	v_mad_u64_u32 v[5:6], s[8:9], v1, 24, v[0:1]
	v_mov_b32_e32 v0, v44
	v_mov_b32_e32 v1, v45
	v_add_u32_e32 v44, 32, v44
	v_mov_b32_e32 v3, v5
	global_store_dword v[2:3], v50, off offset:8
	s_andn2_b64 exec, exec, s[6:7]
	s_cbranch_execnz .LBB1_574
.LBB1_575:                              ;   in Loop: Header=BB1_13 Depth=1
	s_or_b64 exec, exec, s[4:5]
	s_mov_b64 s[8:9], -1
	s_mov_b64 s[4:5], -1
	s_and_saveexec_b64 s[10:11], s[50:51]
	s_cbranch_execz .LBB1_716
; %bb.576:                              ;   in Loop: Header=BB1_13 Depth=1
	buffer_load_dword v0, off, s[0:3], 0 offset:164 ; 4-byte Folded Reload
	buffer_load_dword v2, off, s[0:3], 0 offset:168 ; 4-byte Folded Reload
	;; [unrolled: 1-line block ×3, first 2 shown]
	s_mov_b64 s[4:5], 0
	s_mov_b64 s[6:7], 0
	s_waitcnt vmcnt(0)
	v_sub_u32_e32 v0, v0, v4
	v_ashrrev_i32_e32 v1, 31, v0
	v_add_co_u32_e32 v0, vcc, v2, v0
	v_addc_co_u32_e32 v1, vcc, v3, v1, vcc
	v_max_i32_e32 v2, 1, v4
.LBB1_577:                              ;   Parent Loop BB1_13 Depth=1
                                        ; =>  This Inner Loop Header: Depth=2
	v_mov_b32_e32 v3, s7
	v_add_co_u32_e32 v5, vcc, s6, v0
	v_addc_co_u32_e32 v6, vcc, v1, v3, vcc
	global_load_ubyte v7, v[5:6], off
	v_add_co_u32_e32 v5, vcc, s6, v35
	s_add_u32 s6, s6, 1
	v_addc_co_u32_e32 v6, vcc, v36, v3, vcc
	s_addc_u32 s7, s7, 0
	v_cmp_eq_u32_e32 vcc, s6, v2
	s_or_b64 s[4:5], vcc, s[4:5]
	s_waitcnt vmcnt(0)
	global_store_byte v[5:6], v7, off
	s_andn2_b64 exec, exec, s[4:5]
	s_cbranch_execnz .LBB1_577
; %bb.578:                              ;   in Loop: Header=BB1_13 Depth=1
	s_or_b64 exec, exec, s[4:5]
	s_andn2_b64 vcc, exec, s[74:75]
	s_cbranch_vccnz .LBB1_702
; %bb.579:                              ;   in Loop: Header=BB1_13 Depth=1
	v_mov_b32_e32 v2, v35
	v_xor_b32_e32 v8, 0x3fb0bb5f, v4
	v_add_u32_e32 v9, 4, v4
	v_mov_b32_e32 v10, 0x58
	v_mov_b32_e32 v7, 0
	s_mov_b64 s[12:13], 0
	s_mov_b32 s40, 0
	v_mov_b32_e32 v3, v36
	s_branch .LBB1_584
.LBB1_580:                              ;   in Loop: Header=BB1_584 Depth=2
	s_or_b64 exec, exec, s[22:23]
	s_and_b64 s[4:5], vcc, s[4:5]
	s_and_b64 s[6:7], s[4:5], exec
.LBB1_581:                              ;   in Loop: Header=BB1_584 Depth=2
	s_or_b64 exec, exec, s[18:19]
	s_and_b64 s[4:5], s[6:7], exec
.LBB1_582:                              ;   in Loop: Header=BB1_584 Depth=2
	s_or_b64 exec, exec, s[16:17]
	s_and_b64 s[4:5], s[4:5], exec
.LBB1_583:                              ;   in Loop: Header=BB1_584 Depth=2
	s_or_b64 exec, exec, s[14:15]
	s_add_i32 s40, s40, 1
	s_cmp_eq_u32 s40, s66
	s_cselect_b64 s[6:7], -1, 0
	s_xor_b64 s[4:5], s[4:5], -1
	s_or_b64 s[4:5], s[4:5], s[6:7]
	s_and_b64 s[4:5], exec, s[4:5]
	s_or_b64 s[12:13], s[4:5], s[12:13]
	v_mov_b32_e32 v10, v13
	s_andn2_b64 exec, exec, s[12:13]
	s_cbranch_execz .LBB1_701
.LBB1_584:                              ;   Parent Loop BB1_13 Depth=1
                                        ; =>  This Loop Header: Depth=2
                                        ;       Child Loop BB1_590 Depth 3
                                        ;       Child Loop BB1_609 Depth 3
	;; [unrolled: 1-line block ×3, first 2 shown]
                                        ;         Child Loop BB1_620 Depth 4
                                        ;       Child Loop BB1_634 Depth 3
                                        ;       Child Loop BB1_653 Depth 3
	;; [unrolled: 1-line block ×3, first 2 shown]
                                        ;         Child Loop BB1_664 Depth 4
	v_and_b32_e32 v11, 3, v2
	v_cmp_ne_u32_e32 vcc, 0, v11
                                        ; implicit-def: $vgpr16
	s_and_saveexec_b64 s[4:5], vcc
	s_xor_b64 s[6:7], exec, s[4:5]
	s_cbranch_execz .LBB1_607
; %bb.585:                              ;   in Loop: Header=BB1_584 Depth=2
	v_cmp_gt_i32_e64 s[4:5], 3, v11
	v_mov_b32_e32 v5, 0
	s_and_saveexec_b64 s[14:15], s[4:5]
	s_cbranch_execz .LBB1_589
; %bb.586:                              ;   in Loop: Header=BB1_584 Depth=2
	v_cmp_ne_u32_e64 s[4:5], 2, v11
	v_mov_b32_e32 v0, 0
	s_and_saveexec_b64 s[16:17], s[4:5]
	s_cbranch_execz .LBB1_588
; %bb.587:                              ;   in Loop: Header=BB1_584 Depth=2
	global_load_ubyte v0, v[2:3], off offset:2
	s_waitcnt vmcnt(0)
	v_lshlrev_b32_e32 v0, 16, v0
.LBB1_588:                              ;   in Loop: Header=BB1_584 Depth=2
	s_or_b64 exec, exec, s[16:17]
	global_load_ubyte v1, v[2:3], off offset:1
	s_waitcnt vmcnt(0)
	v_lshl_or_b32 v5, v1, 8, v0
.LBB1_589:                              ;   in Loop: Header=BB1_584 Depth=2
	s_or_b64 exec, exec, s[14:15]
	global_load_ubyte v6, v[2:3], off
	v_sub_u32_e32 v12, 4, v11
	v_lshlrev_b32_e32 v15, 3, v11
	v_add_co_u32_e64 v0, s[4:5], v2, v12
	v_add_u32_e32 v13, v4, v11
	s_mov_b64 s[14:15], 0
	v_addc_co_u32_e64 v1, s[4:5], 0, v3, s[4:5]
	v_lshlrev_b32_e32 v17, 3, v12
	v_mov_b32_e32 v14, v8
	s_waitcnt vmcnt(0)
	v_or_b32_e32 v5, v5, v6
	v_lshlrev_b32_e32 v5, v15, v5
.LBB1_590:                              ;   Parent Loop BB1_13 Depth=1
                                        ;     Parent Loop BB1_584 Depth=2
                                        ; =>    This Inner Loop Header: Depth=3
	global_load_dword v12, v[0:1], off
	v_lshrrev_b32_e32 v5, v15, v5
	v_mul_lo_u32 v6, v14, s97
	v_add_co_u32_e64 v0, s[4:5], 4, v0
	v_addc_co_u32_e64 v1, s[4:5], 0, v1, s[4:5]
	v_add_u32_e32 v13, -4, v13
	v_cmp_gt_u32_e64 s[4:5], 8, v13
	s_or_b64 s[14:15], s[4:5], s[14:15]
	s_waitcnt vmcnt(0)
	v_lshl_or_b32 v5, v12, v17, v5
	v_mul_lo_u32 v5, v5, s97
	v_xor_b32_sdwa v5, v5, v5 dst_sel:DWORD dst_unused:UNUSED_PAD src0_sel:BYTE_3 src1_sel:DWORD
	v_mul_lo_u32 v14, v5, s97
	v_mov_b32_e32 v5, v12
	v_xor_b32_e32 v14, v14, v6
	s_andn2_b64 exec, exec, s[14:15]
	s_cbranch_execnz .LBB1_590
; %bb.591:                              ;   in Loop: Header=BB1_584 Depth=2
	s_or_b64 exec, exec, s[14:15]
	v_add_co_u32_e64 v5, s[4:5], -4, v0
	v_addc_co_u32_e64 v6, s[4:5], -1, v1, s[4:5]
	v_add_u32_e32 v18, -4, v13
	v_cmp_ge_u32_e64 s[4:5], v18, v11
                                        ; implicit-def: $vgpr16
	s_and_saveexec_b64 s[14:15], s[4:5]
	s_xor_b64 s[14:15], exec, s[14:15]
	s_cbranch_execz .LBB1_601
; %bb.592:                              ;   in Loop: Header=BB1_584 Depth=2
	v_cmp_lt_i32_e64 s[4:5], 2, v11
	s_mov_b64 s[16:17], 0
                                        ; implicit-def: $vgpr16
	s_and_saveexec_b64 s[18:19], s[4:5]
	s_xor_b64 s[4:5], exec, s[18:19]
	s_cbranch_execnz .LBB1_679
; %bb.593:                              ;   in Loop: Header=BB1_584 Depth=2
	s_andn2_saveexec_b64 s[18:19], s[4:5]
	s_cbranch_execnz .LBB1_680
.LBB1_594:                              ;   in Loop: Header=BB1_584 Depth=2
	s_or_b64 exec, exec, s[18:19]
	v_mov_b32_e32 v19, 0
	s_and_saveexec_b64 s[4:5], s[16:17]
	s_cbranch_execz .LBB1_596
.LBB1_595:                              ;   in Loop: Header=BB1_584 Depth=2
	global_load_ubyte v19, v[5:6], off offset:5
	s_waitcnt vmcnt(0)
	v_lshl_or_b32 v19, v19, 8, v16
.LBB1_596:                              ;   in Loop: Header=BB1_584 Depth=2
	s_or_b64 exec, exec, s[4:5]
	global_load_ubyte v16, v[0:1], off
	v_lshrrev_b32_e32 v15, v15, v12
	v_add_co_u32_e64 v5, s[4:5], v5, v11
	v_addc_co_u32_e64 v6, s[4:5], 0, v6, s[4:5]
	s_mov_b64 s[16:17], 0
	s_waitcnt vmcnt(0)
	v_or_b32_e32 v16, v19, v16
	v_lshl_or_b32 v15, v16, v17, v15
	v_mul_lo_u32 v15, v15, s97
	v_mul_lo_u32 v16, v14, s97
	v_sub_u32_e32 v17, v18, v11
	v_cmp_lt_i32_e64 s[4:5], 1, v17
	v_xor_b32_sdwa v15, v15, v15 dst_sel:DWORD dst_unused:UNUSED_PAD src0_sel:BYTE_3 src1_sel:DWORD
	v_mul_lo_u32 v15, v15, s97
	v_xor_b32_e32 v16, v15, v16
                                        ; implicit-def: $vgpr15
	s_and_saveexec_b64 s[18:19], s[4:5]
	s_xor_b64 s[4:5], exec, s[18:19]
	s_cbranch_execnz .LBB1_681
; %bb.597:                              ;   in Loop: Header=BB1_584 Depth=2
	s_andn2_saveexec_b64 s[18:19], s[4:5]
	s_cbranch_execnz .LBB1_682
.LBB1_598:                              ;   in Loop: Header=BB1_584 Depth=2
	s_or_b64 exec, exec, s[18:19]
	s_and_saveexec_b64 s[4:5], s[16:17]
	s_cbranch_execz .LBB1_600
.LBB1_599:                              ;   in Loop: Header=BB1_584 Depth=2
	global_load_ubyte v5, v[5:6], off offset:4
	s_waitcnt vmcnt(0)
	v_xor_b32_e32 v5, v15, v5
	v_mul_lo_u32 v16, v5, s97
.LBB1_600:                              ;   in Loop: Header=BB1_584 Depth=2
	s_or_b64 exec, exec, s[4:5]
                                        ; implicit-def: $vgpr15
                                        ; implicit-def: $vgpr17
                                        ; implicit-def: $vgpr5_vgpr6
.LBB1_601:                              ;   in Loop: Header=BB1_584 Depth=2
	s_andn2_saveexec_b64 s[14:15], s[14:15]
	s_cbranch_execz .LBB1_670
; %bb.602:                              ;   in Loop: Header=BB1_584 Depth=2
	v_cmp_lt_i32_e64 s[4:5], 5, v13
	s_mov_b64 s[16:17], 0
                                        ; implicit-def: $vgpr16
	s_and_saveexec_b64 s[18:19], s[4:5]
	s_xor_b64 s[4:5], exec, s[18:19]
	s_cbranch_execnz .LBB1_683
; %bb.603:                              ;   in Loop: Header=BB1_584 Depth=2
	s_andn2_saveexec_b64 s[18:19], s[4:5]
	s_cbranch_execnz .LBB1_684
.LBB1_604:                              ;   in Loop: Header=BB1_584 Depth=2
	s_or_b64 exec, exec, s[18:19]
	v_mov_b32_e32 v5, 0
	s_and_saveexec_b64 s[4:5], s[16:17]
	s_cbranch_execz .LBB1_606
.LBB1_605:                              ;   in Loop: Header=BB1_584 Depth=2
	global_load_ubyte v0, v[0:1], off
	s_waitcnt vmcnt(0)
	v_or_b32_e32 v5, v16, v0
.LBB1_606:                              ;   in Loop: Header=BB1_584 Depth=2
	s_or_b64 exec, exec, s[4:5]
	v_lshrrev_b32_e32 v0, v15, v12
	v_lshl_or_b32 v0, v5, v17, v0
	v_xor_b32_e32 v0, v0, v14
	v_mul_lo_u32 v16, v0, s97
	s_or_b64 exec, exec, s[14:15]
.LBB1_607:                              ;   in Loop: Header=BB1_584 Depth=2
	s_andn2_saveexec_b64 s[6:7], s[6:7]
	s_cbranch_execz .LBB1_615
.LBB1_608:                              ;   in Loop: Header=BB1_584 Depth=2
	v_mov_b32_e32 v0, v2
	s_mov_b64 s[14:15], 0
	v_mov_b32_e32 v5, v9
	v_mov_b32_e32 v1, v3
	;; [unrolled: 1-line block ×3, first 2 shown]
.LBB1_609:                              ;   Parent Loop BB1_13 Depth=1
                                        ;     Parent Loop BB1_584 Depth=2
                                        ; =>    This Inner Loop Header: Depth=3
	global_load_dword v6, v[0:1], off
	v_mul_lo_u32 v12, v16, s97
	v_add_co_u32_e64 v0, s[4:5], 4, v0
	v_addc_co_u32_e64 v1, s[4:5], 0, v1, s[4:5]
	v_add_u32_e32 v5, -4, v5
	v_cmp_gt_u32_e64 s[4:5], 8, v5
	s_or_b64 s[14:15], s[4:5], s[14:15]
	s_waitcnt vmcnt(0)
	v_mul_lo_u32 v6, v6, s97
	v_xor_b32_sdwa v6, v6, v6 dst_sel:DWORD dst_unused:UNUSED_PAD src0_sel:BYTE_3 src1_sel:DWORD
	v_mul_lo_u32 v6, v6, s97
	v_xor_b32_e32 v16, v6, v12
	s_andn2_b64 exec, exec, s[14:15]
	s_cbranch_execnz .LBB1_609
; %bb.610:                              ;   in Loop: Header=BB1_584 Depth=2
	s_or_b64 exec, exec, s[14:15]
	v_cmp_lt_i32_e64 s[4:5], 5, v5
	s_mov_b64 s[14:15], 0
                                        ; implicit-def: $vgpr6
	s_and_saveexec_b64 s[16:17], s[4:5]
	s_xor_b64 s[16:17], exec, s[16:17]
	s_cbranch_execnz .LBB1_671
; %bb.611:                              ;   in Loop: Header=BB1_584 Depth=2
	s_andn2_saveexec_b64 s[16:17], s[16:17]
	s_cbranch_execnz .LBB1_674
.LBB1_612:                              ;   in Loop: Header=BB1_584 Depth=2
	s_or_b64 exec, exec, s[16:17]
	s_and_saveexec_b64 s[4:5], s[14:15]
	s_cbranch_execz .LBB1_614
.LBB1_613:                              ;   in Loop: Header=BB1_584 Depth=2
	global_load_ubyte v0, v[0:1], off
	s_waitcnt vmcnt(0)
	v_xor_b32_e32 v0, v6, v0
	v_mul_lo_u32 v16, v0, s97
.LBB1_614:                              ;   in Loop: Header=BB1_584 Depth=2
	s_or_b64 exec, exec, s[4:5]
.LBB1_615:                              ;   in Loop: Header=BB1_584 Depth=2
	s_or_b64 exec, exec, s[6:7]
	v_lshrrev_b32_e32 v0, 13, v16
	v_xor_b32_e32 v0, v0, v16
	v_mul_lo_u32 v0, v0, s97
	s_mov_b64 s[16:17], -1
	v_lshrrev_b32_e32 v1, 15, v0
	v_xor_b32_e32 v0, v1, v0
	buffer_load_dword v1, off, s[0:3], 0 offset:88 ; 4-byte Folded Reload
	s_waitcnt vmcnt(0)
	v_mul_hi_u32 v1, v0, v1
	v_mul_lo_u32 v1, v1, s66
	v_sub_u32_e32 v0, v0, v1
	v_subrev_u32_e32 v1, s66, v0
	v_cmp_le_u32_e64 s[4:5], s66, v0
	v_cndmask_b32_e64 v0, v0, v1, s[4:5]
	v_subrev_u32_e32 v1, s66, v0
	v_cmp_le_u32_e64 s[4:5], s66, v0
	v_cndmask_b32_e64 v5, v0, v1, s[4:5]
	v_mad_u64_u32 v[0:1], s[4:5], v5, 24, v[33:34]
	global_load_dword v6, v[0:1], off offset:8
	s_waitcnt vmcnt(0)
	v_cmp_ne_u32_e64 s[4:5], -1, v6
	s_and_saveexec_b64 s[6:7], s[4:5]
	s_cbranch_execz .LBB1_627
; %bb.616:                              ;   in Loop: Header=BB1_584 Depth=2
	s_mov_b64 s[14:15], 0
                                        ; implicit-def: $sgpr16_sgpr17
	s_branch .LBB1_618
.LBB1_617:                              ;   in Loop: Header=BB1_618 Depth=3
	s_or_b64 exec, exec, s[22:23]
	s_xor_b64 s[4:5], s[18:19], -1
	s_and_b64 s[18:19], exec, s[20:21]
	s_or_b64 s[14:15], s[18:19], s[14:15]
	s_andn2_b64 s[16:17], s[16:17], exec
	s_and_b64 s[4:5], s[4:5], exec
	s_or_b64 s[16:17], s[16:17], s[4:5]
	s_andn2_b64 exec, exec, s[14:15]
	s_cbranch_execz .LBB1_626
.LBB1_618:                              ;   Parent Loop BB1_13 Depth=1
                                        ;     Parent Loop BB1_584 Depth=2
                                        ; =>    This Loop Header: Depth=3
                                        ;         Child Loop BB1_620 Depth 4
	global_load_dwordx2 v[0:1], v[0:1], off
	s_mov_b64 s[20:21], 0
	s_mov_b64 s[26:27], 0
                                        ; implicit-def: $sgpr18_sgpr19
                                        ; implicit-def: $sgpr24_sgpr25
                                        ; implicit-def: $sgpr22_sgpr23
	s_branch .LBB1_620
.LBB1_619:                              ;   in Loop: Header=BB1_620 Depth=4
	s_or_b64 exec, exec, s[28:29]
	s_xor_b64 s[4:5], s[22:23], -1
	s_and_b64 s[28:29], exec, s[24:25]
	s_or_b64 s[20:21], s[28:29], s[20:21]
	s_andn2_b64 s[18:19], s[18:19], exec
	s_and_b64 s[4:5], s[4:5], exec
	s_or_b64 s[18:19], s[18:19], s[4:5]
	s_andn2_b64 exec, exec, s[20:21]
	s_cbranch_execz .LBB1_622
.LBB1_620:                              ;   Parent Loop BB1_13 Depth=1
                                        ;     Parent Loop BB1_584 Depth=2
                                        ;       Parent Loop BB1_618 Depth=3
                                        ; =>      This Inner Loop Header: Depth=4
	v_mov_b32_e32 v14, s27
	s_waitcnt vmcnt(0)
	v_add_co_u32_e64 v12, s[4:5], s26, v0
	v_addc_co_u32_e64 v13, s[4:5], v1, v14, s[4:5]
	flat_load_ubyte v15, v[12:13]
	v_add_co_u32_e64 v12, s[4:5], s26, v2
	v_addc_co_u32_e64 v13, s[4:5], v3, v14, s[4:5]
	global_load_ubyte v12, v[12:13], off
	s_or_b64 s[22:23], s[22:23], exec
	s_or_b64 s[24:25], s[24:25], exec
	s_waitcnt vmcnt(0) lgkmcnt(0)
	v_cmp_eq_u16_e64 s[4:5], v15, v12
	s_and_saveexec_b64 s[28:29], s[4:5]
	s_cbranch_execz .LBB1_619
; %bb.621:                              ;   in Loop: Header=BB1_620 Depth=4
	s_add_u32 s26, s26, 1
	v_cmp_eq_u32_e64 s[4:5], s26, v4
	s_addc_u32 s27, s27, 0
	s_andn2_b64 s[24:25], s[24:25], exec
	s_and_b64 s[4:5], s[4:5], exec
	s_andn2_b64 s[22:23], s[22:23], exec
	s_or_b64 s[24:25], s[24:25], s[4:5]
	s_branch .LBB1_619
.LBB1_622:                              ;   in Loop: Header=BB1_618 Depth=3
	s_or_b64 exec, exec, s[20:21]
	s_mov_b64 s[20:21], -1
	s_mov_b64 s[4:5], -1
	s_and_saveexec_b64 s[22:23], s[18:19]
	s_xor_b64 s[18:19], exec, s[22:23]
; %bb.623:                              ;   in Loop: Header=BB1_618 Depth=3
	v_cmp_ne_u32_e64 s[4:5], v6, v4
	s_orn2_b64 s[4:5], s[4:5], exec
; %bb.624:                              ;   in Loop: Header=BB1_618 Depth=3
	s_or_b64 exec, exec, s[18:19]
	s_mov_b64 s[18:19], -1
                                        ; implicit-def: $vgpr0_vgpr1
                                        ; implicit-def: $vgpr6
	s_and_saveexec_b64 s[22:23], s[4:5]
	s_cbranch_execz .LBB1_617
; %bb.625:                              ;   in Loop: Header=BB1_618 Depth=3
	v_add_u32_e32 v0, 1, v5
	v_cmp_ne_u32_e64 s[4:5], s66, v0
	v_cndmask_b32_e64 v5, 0, v0, s[4:5]
	v_mad_u64_u32 v[0:1], s[4:5], v5, 24, v[33:34]
	s_xor_b64 s[18:19], exec, -1
	global_load_dword v6, v[0:1], off offset:8
	s_waitcnt vmcnt(0)
	v_cmp_eq_u32_e64 s[4:5], -1, v6
	s_orn2_b64 s[20:21], s[4:5], exec
	s_branch .LBB1_617
.LBB1_626:                              ;   in Loop: Header=BB1_584 Depth=2
	s_or_b64 exec, exec, s[14:15]
	s_orn2_b64 s[16:17], s[16:17], exec
.LBB1_627:                              ;   in Loop: Header=BB1_584 Depth=2
	s_or_b64 exec, exec, s[6:7]
	s_mov_b64 s[4:5], 0
	v_mov_b32_e32 v13, 0x52
	s_and_saveexec_b64 s[14:15], s[16:17]
	s_cbranch_execz .LBB1_583
; %bb.628:                              ;   in Loop: Header=BB1_584 Depth=2
	global_store_dwordx3 v[0:1], v[2:4], off
	global_store_byte v[0:1], v54, off offset:16
                                        ; implicit-def: $vgpr15
	s_and_saveexec_b64 s[4:5], vcc
	s_xor_b64 s[4:5], exec, s[4:5]
	s_cbranch_execz .LBB1_651
; %bb.629:                              ;   in Loop: Header=BB1_584 Depth=2
	v_cmp_gt_i32_e32 vcc, 3, v11
	v_mov_b32_e32 v5, 0
	s_and_saveexec_b64 s[6:7], vcc
	s_cbranch_execz .LBB1_633
; %bb.630:                              ;   in Loop: Header=BB1_584 Depth=2
	v_cmp_ne_u32_e32 vcc, 2, v11
	v_mov_b32_e32 v0, 0
	s_and_saveexec_b64 s[16:17], vcc
	s_cbranch_execz .LBB1_632
; %bb.631:                              ;   in Loop: Header=BB1_584 Depth=2
	global_load_ubyte v0, v[2:3], off offset:2
	s_waitcnt vmcnt(0)
	v_lshlrev_b32_e32 v0, 16, v0
.LBB1_632:                              ;   in Loop: Header=BB1_584 Depth=2
	s_or_b64 exec, exec, s[16:17]
	global_load_ubyte v1, v[2:3], off offset:1
	s_waitcnt vmcnt(0)
	v_lshl_or_b32 v5, v1, 8, v0
.LBB1_633:                              ;   in Loop: Header=BB1_584 Depth=2
	s_or_b64 exec, exec, s[6:7]
	global_load_ubyte v6, v[2:3], off
	v_sub_u32_e32 v12, 4, v11
	v_lshlrev_b32_e32 v16, 3, v11
	v_add_co_u32_e32 v0, vcc, v2, v12
	v_add_u32_e32 v13, v4, v11
	s_mov_b64 s[6:7], 0
	v_addc_co_u32_e32 v1, vcc, 0, v3, vcc
	v_lshlrev_b32_e32 v17, 3, v12
	v_mov_b32_e32 v14, v8
	s_waitcnt vmcnt(0)
	v_or_b32_e32 v5, v5, v6
	v_lshlrev_b32_e32 v5, v16, v5
.LBB1_634:                              ;   Parent Loop BB1_13 Depth=1
                                        ;     Parent Loop BB1_584 Depth=2
                                        ; =>    This Inner Loop Header: Depth=3
	global_load_dword v12, v[0:1], off
	v_lshrrev_b32_e32 v5, v16, v5
	v_mul_lo_u32 v6, v14, s97
	v_add_co_u32_e32 v0, vcc, 4, v0
	v_addc_co_u32_e32 v1, vcc, 0, v1, vcc
	v_add_u32_e32 v13, -4, v13
	v_cmp_gt_u32_e32 vcc, 8, v13
	s_or_b64 s[6:7], vcc, s[6:7]
	s_waitcnt vmcnt(0)
	v_lshl_or_b32 v5, v12, v17, v5
	v_mul_lo_u32 v5, v5, s97
	v_xor_b32_sdwa v5, v5, v5 dst_sel:DWORD dst_unused:UNUSED_PAD src0_sel:BYTE_3 src1_sel:DWORD
	v_mul_lo_u32 v14, v5, s97
	v_mov_b32_e32 v5, v12
	v_xor_b32_e32 v14, v14, v6
	s_andn2_b64 exec, exec, s[6:7]
	s_cbranch_execnz .LBB1_634
; %bb.635:                              ;   in Loop: Header=BB1_584 Depth=2
	s_or_b64 exec, exec, s[6:7]
	v_add_co_u32_e32 v5, vcc, -4, v0
	v_addc_co_u32_e32 v6, vcc, -1, v1, vcc
	v_add_u32_e32 v18, -4, v13
	v_cmp_ge_u32_e32 vcc, v18, v11
                                        ; implicit-def: $vgpr15
	s_and_saveexec_b64 s[6:7], vcc
	s_xor_b64 s[6:7], exec, s[6:7]
	s_cbranch_execz .LBB1_645
; %bb.636:                              ;   in Loop: Header=BB1_584 Depth=2
	v_cmp_lt_i32_e32 vcc, 2, v11
	s_mov_b64 s[16:17], 0
                                        ; implicit-def: $vgpr15
	s_and_saveexec_b64 s[18:19], vcc
	s_xor_b64 s[18:19], exec, s[18:19]
	s_cbranch_execnz .LBB1_690
; %bb.637:                              ;   in Loop: Header=BB1_584 Depth=2
	s_andn2_saveexec_b64 s[18:19], s[18:19]
	s_cbranch_execnz .LBB1_691
.LBB1_638:                              ;   in Loop: Header=BB1_584 Depth=2
	s_or_b64 exec, exec, s[18:19]
	v_mov_b32_e32 v19, 0
	s_and_saveexec_b64 s[18:19], s[16:17]
	s_cbranch_execz .LBB1_640
.LBB1_639:                              ;   in Loop: Header=BB1_584 Depth=2
	global_load_ubyte v19, v[5:6], off offset:5
	s_waitcnt vmcnt(0)
	v_lshl_or_b32 v19, v19, 8, v15
.LBB1_640:                              ;   in Loop: Header=BB1_584 Depth=2
	s_or_b64 exec, exec, s[18:19]
	global_load_ubyte v15, v[0:1], off
	v_lshrrev_b32_e32 v16, v16, v12
	v_add_co_u32_e32 v5, vcc, v5, v11
	v_addc_co_u32_e32 v6, vcc, 0, v6, vcc
	s_mov_b64 s[16:17], 0
	s_waitcnt vmcnt(0)
	v_or_b32_e32 v15, v19, v15
	v_lshl_or_b32 v15, v15, v17, v16
	v_mul_lo_u32 v15, v15, s97
	v_mul_lo_u32 v17, v14, s97
	v_sub_u32_e32 v16, v18, v11
	v_cmp_lt_i32_e32 vcc, 1, v16
	v_xor_b32_sdwa v15, v15, v15 dst_sel:DWORD dst_unused:UNUSED_PAD src0_sel:BYTE_3 src1_sel:DWORD
	v_mul_lo_u32 v15, v15, s97
                                        ; implicit-def: $vgpr11
	v_xor_b32_e32 v15, v15, v17
	s_and_saveexec_b64 s[18:19], vcc
	s_xor_b64 s[18:19], exec, s[18:19]
	s_cbranch_execnz .LBB1_692
; %bb.641:                              ;   in Loop: Header=BB1_584 Depth=2
	s_andn2_saveexec_b64 s[18:19], s[18:19]
	s_cbranch_execnz .LBB1_695
.LBB1_642:                              ;   in Loop: Header=BB1_584 Depth=2
	s_or_b64 exec, exec, s[18:19]
	s_and_saveexec_b64 s[18:19], s[16:17]
	s_cbranch_execz .LBB1_644
.LBB1_643:                              ;   in Loop: Header=BB1_584 Depth=2
	global_load_ubyte v5, v[5:6], off offset:4
	s_waitcnt vmcnt(0)
	v_xor_b32_e32 v5, v11, v5
	v_mul_lo_u32 v15, v5, s97
.LBB1_644:                              ;   in Loop: Header=BB1_584 Depth=2
	s_or_b64 exec, exec, s[18:19]
                                        ; implicit-def: $vgpr16
                                        ; implicit-def: $vgpr17
                                        ; implicit-def: $vgpr5_vgpr6
.LBB1_645:                              ;   in Loop: Header=BB1_584 Depth=2
	s_andn2_saveexec_b64 s[6:7], s[6:7]
	s_cbranch_execz .LBB1_685
; %bb.646:                              ;   in Loop: Header=BB1_584 Depth=2
	v_cmp_lt_i32_e32 vcc, 5, v13
	s_mov_b64 s[16:17], 0
                                        ; implicit-def: $vgpr11
	s_and_saveexec_b64 s[18:19], vcc
	s_xor_b64 s[18:19], exec, s[18:19]
	s_cbranch_execnz .LBB1_696
; %bb.647:                              ;   in Loop: Header=BB1_584 Depth=2
	s_andn2_saveexec_b64 s[18:19], s[18:19]
	s_cbranch_execnz .LBB1_697
.LBB1_648:                              ;   in Loop: Header=BB1_584 Depth=2
	s_or_b64 exec, exec, s[18:19]
	v_mov_b32_e32 v5, 0
	s_and_saveexec_b64 s[18:19], s[16:17]
	s_cbranch_execz .LBB1_650
.LBB1_649:                              ;   in Loop: Header=BB1_584 Depth=2
	global_load_ubyte v0, v[0:1], off
	s_waitcnt vmcnt(0)
	v_or_b32_e32 v5, v11, v0
.LBB1_650:                              ;   in Loop: Header=BB1_584 Depth=2
	s_or_b64 exec, exec, s[18:19]
	v_lshrrev_b32_e32 v0, v16, v12
	v_lshl_or_b32 v0, v5, v17, v0
	v_xor_b32_e32 v0, v0, v14
	v_mul_lo_u32 v15, v0, s97
	s_or_b64 exec, exec, s[6:7]
.LBB1_651:                              ;   in Loop: Header=BB1_584 Depth=2
	s_andn2_saveexec_b64 s[4:5], s[4:5]
	s_cbranch_execz .LBB1_659
.LBB1_652:                              ;   in Loop: Header=BB1_584 Depth=2
	v_mov_b32_e32 v0, v2
	s_mov_b64 s[6:7], 0
	v_mov_b32_e32 v5, v9
	v_mov_b32_e32 v1, v3
	;; [unrolled: 1-line block ×3, first 2 shown]
.LBB1_653:                              ;   Parent Loop BB1_13 Depth=1
                                        ;     Parent Loop BB1_584 Depth=2
                                        ; =>    This Inner Loop Header: Depth=3
	global_load_dword v6, v[0:1], off
	v_mul_lo_u32 v11, v15, s97
	v_add_co_u32_e32 v0, vcc, 4, v0
	v_addc_co_u32_e32 v1, vcc, 0, v1, vcc
	v_add_u32_e32 v5, -4, v5
	v_cmp_gt_u32_e32 vcc, 8, v5
	s_or_b64 s[6:7], vcc, s[6:7]
	s_waitcnt vmcnt(0)
	v_mul_lo_u32 v6, v6, s97
	v_xor_b32_sdwa v6, v6, v6 dst_sel:DWORD dst_unused:UNUSED_PAD src0_sel:BYTE_3 src1_sel:DWORD
	v_mul_lo_u32 v6, v6, s97
	v_xor_b32_e32 v15, v6, v11
	s_andn2_b64 exec, exec, s[6:7]
	s_cbranch_execnz .LBB1_653
; %bb.654:                              ;   in Loop: Header=BB1_584 Depth=2
	s_or_b64 exec, exec, s[6:7]
	v_cmp_lt_i32_e32 vcc, 5, v5
	s_mov_b64 s[6:7], 0
                                        ; implicit-def: $vgpr6
	s_and_saveexec_b64 s[16:17], vcc
	s_xor_b64 s[16:17], exec, s[16:17]
	s_cbranch_execnz .LBB1_686
; %bb.655:                              ;   in Loop: Header=BB1_584 Depth=2
	s_andn2_saveexec_b64 s[16:17], s[16:17]
	s_cbranch_execnz .LBB1_689
.LBB1_656:                              ;   in Loop: Header=BB1_584 Depth=2
	s_or_b64 exec, exec, s[16:17]
	s_and_saveexec_b64 s[16:17], s[6:7]
	s_cbranch_execz .LBB1_658
.LBB1_657:                              ;   in Loop: Header=BB1_584 Depth=2
	global_load_ubyte v0, v[0:1], off
	s_waitcnt vmcnt(0)
	v_xor_b32_e32 v0, v6, v0
	v_mul_lo_u32 v15, v0, s97
.LBB1_658:                              ;   in Loop: Header=BB1_584 Depth=2
	s_or_b64 exec, exec, s[16:17]
.LBB1_659:                              ;   in Loop: Header=BB1_584 Depth=2
	s_or_b64 exec, exec, s[4:5]
	v_lshrrev_b32_e32 v0, 13, v15
	v_xor_b32_e32 v0, v0, v15
	v_mul_lo_u32 v0, v0, s97
	v_mov_b32_e32 v13, 0x58
	v_lshrrev_b32_e32 v1, 15, v0
	v_xor_b32_e32 v0, v1, v0
	buffer_load_dword v1, off, s[0:3], 0 offset:132 ; 4-byte Folded Reload
	s_waitcnt vmcnt(0)
	v_mul_hi_u32 v1, v0, v1
	v_mul_lo_u32 v1, v1, v42
	v_sub_u32_e32 v0, v0, v1
	v_sub_u32_e32 v1, v0, v42
	v_cmp_ge_u32_e32 vcc, v0, v42
	v_cndmask_b32_e32 v0, v0, v1, vcc
	v_sub_u32_e32 v1, v0, v42
	v_cmp_ge_u32_e32 vcc, v0, v42
	v_cndmask_b32_e32 v11, v0, v1, vcc
	v_mad_u64_u32 v[5:6], s[4:5], v11, 56, v[40:41]
	s_mov_b64 s[4:5], 0
	global_load_dword v12, v[5:6], off offset:8
	s_waitcnt vmcnt(0)
	v_cmp_ne_u32_e32 vcc, -1, v12
	s_and_saveexec_b64 s[16:17], vcc
	s_cbranch_execz .LBB1_582
; %bb.660:                              ;   in Loop: Header=BB1_584 Depth=2
	s_mov_b64 s[6:7], 0
                                        ; implicit-def: $sgpr4_sgpr5
                                        ; implicit-def: $sgpr18_sgpr19
	s_branch .LBB1_662
.LBB1_661:                              ;   in Loop: Header=BB1_662 Depth=3
	s_or_b64 exec, exec, s[20:21]
	s_and_b64 s[20:21], exec, s[22:23]
	s_or_b64 s[6:7], s[20:21], s[6:7]
	s_andn2_b64 s[4:5], s[4:5], exec
	s_and_b64 s[20:21], s[18:19], exec
	s_or_b64 s[4:5], s[4:5], s[20:21]
	s_andn2_b64 exec, exec, s[6:7]
	s_cbranch_execz .LBB1_675
.LBB1_662:                              ;   Parent Loop BB1_13 Depth=1
                                        ;     Parent Loop BB1_584 Depth=2
                                        ; =>    This Loop Header: Depth=3
                                        ;         Child Loop BB1_664 Depth 4
	v_mov_b32_e32 v0, v5
	v_mov_b32_e32 v1, v6
	global_load_dwordx2 v[5:6], v[5:6], off
	s_mov_b64 s[22:23], 0
	s_mov_b64 s[28:29], 0
                                        ; implicit-def: $sgpr20_sgpr21
                                        ; implicit-def: $sgpr26_sgpr27
                                        ; implicit-def: $sgpr24_sgpr25
	s_branch .LBB1_664
.LBB1_663:                              ;   in Loop: Header=BB1_664 Depth=4
	s_or_b64 exec, exec, s[30:31]
	s_xor_b64 s[30:31], s[24:25], -1
	s_and_b64 s[42:43], exec, s[26:27]
	s_or_b64 s[22:23], s[42:43], s[22:23]
	s_andn2_b64 s[20:21], s[20:21], exec
	s_and_b64 s[30:31], s[30:31], exec
	s_or_b64 s[20:21], s[20:21], s[30:31]
	s_andn2_b64 exec, exec, s[22:23]
	s_cbranch_execz .LBB1_666
.LBB1_664:                              ;   Parent Loop BB1_13 Depth=1
                                        ;     Parent Loop BB1_584 Depth=2
                                        ;       Parent Loop BB1_662 Depth=3
                                        ; =>      This Inner Loop Header: Depth=4
	v_mov_b32_e32 v15, s29
	s_waitcnt vmcnt(0)
	v_add_co_u32_e32 v13, vcc, s28, v5
	v_addc_co_u32_e32 v14, vcc, v6, v15, vcc
	flat_load_ubyte v16, v[13:14]
	v_add_co_u32_e32 v13, vcc, s28, v2
	v_addc_co_u32_e32 v14, vcc, v3, v15, vcc
	global_load_ubyte v13, v[13:14], off
	s_or_b64 s[24:25], s[24:25], exec
	s_or_b64 s[26:27], s[26:27], exec
	s_waitcnt vmcnt(0) lgkmcnt(0)
	v_cmp_eq_u16_e32 vcc, v16, v13
	s_and_saveexec_b64 s[30:31], vcc
	s_cbranch_execz .LBB1_663
; %bb.665:                              ;   in Loop: Header=BB1_664 Depth=4
	s_add_u32 s28, s28, 1
	v_cmp_eq_u32_e32 vcc, s28, v4
	s_addc_u32 s29, s29, 0
	s_andn2_b64 s[26:27], s[26:27], exec
	s_and_b64 s[42:43], vcc, exec
	s_andn2_b64 s[24:25], s[24:25], exec
	s_or_b64 s[26:27], s[26:27], s[42:43]
	s_branch .LBB1_663
.LBB1_666:                              ;   in Loop: Header=BB1_662 Depth=3
	s_or_b64 exec, exec, s[22:23]
	s_mov_b64 s[22:23], -1
	s_mov_b64 s[24:25], -1
	s_and_saveexec_b64 s[26:27], s[20:21]
	s_xor_b64 s[20:21], exec, s[26:27]
; %bb.667:                              ;   in Loop: Header=BB1_662 Depth=3
	v_cmp_ne_u32_e32 vcc, v12, v4
	s_orn2_b64 s[24:25], vcc, exec
; %bb.668:                              ;   in Loop: Header=BB1_662 Depth=3
	s_or_b64 exec, exec, s[20:21]
	s_or_b64 s[18:19], s[18:19], exec
                                        ; implicit-def: $vgpr5_vgpr6
                                        ; implicit-def: $vgpr12
	s_and_saveexec_b64 s[20:21], s[24:25]
	s_cbranch_execz .LBB1_661
; %bb.669:                              ;   in Loop: Header=BB1_662 Depth=3
	v_add_u32_e32 v5, 1, v11
	v_cmp_ne_u32_e32 vcc, v5, v42
	v_cndmask_b32_e32 v11, 0, v5, vcc
	v_mad_u64_u32 v[5:6], s[22:23], v11, 56, v[40:41]
	s_andn2_b64 s[18:19], s[18:19], exec
	global_load_dword v12, v[5:6], off offset:8
	s_waitcnt vmcnt(0)
	v_cmp_eq_u32_e32 vcc, -1, v12
	s_orn2_b64 s[22:23], vcc, exec
	s_branch .LBB1_661
.LBB1_670:                              ;   in Loop: Header=BB1_584 Depth=2
	s_or_b64 exec, exec, s[14:15]
	s_andn2_saveexec_b64 s[6:7], s[6:7]
	s_cbranch_execnz .LBB1_608
	s_branch .LBB1_615
.LBB1_671:                              ;   in Loop: Header=BB1_584 Depth=2
	v_cmp_lt_i32_e64 s[4:5], 6, v5
	v_mov_b32_e32 v6, v16
	s_and_saveexec_b64 s[14:15], s[4:5]
	s_cbranch_execz .LBB1_673
; %bb.672:                              ;   in Loop: Header=BB1_584 Depth=2
	global_load_ubyte v6, v[0:1], off offset:2
	s_waitcnt vmcnt(0)
	v_lshlrev_b32_e32 v6, 16, v6
	v_xor_b32_e32 v6, v6, v16
.LBB1_673:                              ;   in Loop: Header=BB1_584 Depth=2
	s_or_b64 exec, exec, s[14:15]
	global_load_ubyte v12, v[0:1], off offset:1
	s_mov_b64 s[14:15], exec
	s_waitcnt vmcnt(0)
	v_lshlrev_b32_e32 v12, 8, v12
	v_xor_b32_e32 v6, v12, v6
	s_andn2_saveexec_b64 s[16:17], s[16:17]
	s_cbranch_execz .LBB1_612
.LBB1_674:                              ;   in Loop: Header=BB1_584 Depth=2
	v_cmp_eq_u32_e64 s[4:5], 5, v5
	s_andn2_b64 s[14:15], s[14:15], exec
	s_and_b64 s[4:5], s[4:5], exec
	s_or_b64 s[14:15], s[14:15], s[4:5]
	v_mov_b32_e32 v6, v16
	s_or_b64 exec, exec, s[16:17]
	s_and_saveexec_b64 s[4:5], s[14:15]
	s_cbranch_execnz .LBB1_613
	s_branch .LBB1_614
.LBB1_675:                              ;   in Loop: Header=BB1_584 Depth=2
	s_or_b64 exec, exec, s[6:7]
	s_mov_b64 s[6:7], 0
	v_mov_b32_e32 v13, 0x58
	s_and_saveexec_b64 s[18:19], s[4:5]
	s_xor_b64 s[18:19], exec, s[18:19]
	s_cbranch_execz .LBB1_581
; %bb.676:                              ;   in Loop: Header=BB1_584 Depth=2
	global_load_ubyte v13, v[0:1], off offset:48
	s_mov_b64 s[20:21], 0
	s_waitcnt vmcnt(0)
	v_cmp_ne_u16_e32 vcc, s90, v13
	v_cmp_ne_u16_e64 s[4:5], s98, v13
	v_cmp_lt_i16_e64 s[6:7], s99, v13
	s_and_saveexec_b64 s[22:23], s[6:7]
	s_xor_b64 s[6:7], exec, s[22:23]
	s_cbranch_execnz .LBB1_698
; %bb.677:                              ;   in Loop: Header=BB1_584 Depth=2
	s_andn2_saveexec_b64 s[6:7], s[6:7]
	s_cbranch_execnz .LBB1_699
.LBB1_678:                              ;   in Loop: Header=BB1_584 Depth=2
	s_or_b64 exec, exec, s[6:7]
	s_and_saveexec_b64 s[22:23], s[20:21]
	s_cbranch_execz .LBB1_580
	s_branch .LBB1_700
.LBB1_679:                              ;   in Loop: Header=BB1_584 Depth=2
	global_load_ubyte v16, v[5:6], off offset:6
	s_mov_b64 s[16:17], exec
	s_waitcnt vmcnt(0)
	v_lshlrev_b32_e32 v16, 16, v16
	s_andn2_saveexec_b64 s[18:19], s[4:5]
	s_cbranch_execz .LBB1_594
.LBB1_680:                              ;   in Loop: Header=BB1_584 Depth=2
	v_cmp_eq_u32_e64 s[4:5], 2, v11
	s_andn2_b64 s[16:17], s[16:17], exec
	s_and_b64 s[4:5], s[4:5], exec
	v_mov_b32_e32 v16, 0
	s_or_b64 s[16:17], s[16:17], s[4:5]
	s_or_b64 exec, exec, s[18:19]
	v_mov_b32_e32 v19, 0
	s_and_saveexec_b64 s[4:5], s[16:17]
	s_cbranch_execnz .LBB1_595
	s_branch .LBB1_596
.LBB1_681:                              ;   in Loop: Header=BB1_584 Depth=2
	global_load_ubyte v15, v[5:6], off offset:5
	s_mov_b64 s[16:17], exec
                                        ; implicit-def: $vgpr17
	s_waitcnt vmcnt(0)
	v_lshlrev_b32_e32 v15, 8, v15
	v_xor_b32_e32 v15, v15, v16
	s_andn2_saveexec_b64 s[18:19], s[4:5]
	s_cbranch_execz .LBB1_598
.LBB1_682:                              ;   in Loop: Header=BB1_584 Depth=2
	v_cmp_eq_u32_e64 s[4:5], 1, v17
	s_andn2_b64 s[16:17], s[16:17], exec
	s_and_b64 s[4:5], s[4:5], exec
	s_or_b64 s[16:17], s[16:17], s[4:5]
	v_mov_b32_e32 v15, v16
	s_or_b64 exec, exec, s[18:19]
	s_and_saveexec_b64 s[4:5], s[16:17]
	s_cbranch_execnz .LBB1_599
	s_branch .LBB1_600
.LBB1_683:                              ;   in Loop: Header=BB1_584 Depth=2
	global_load_ubyte v5, v[5:6], off offset:5
	s_mov_b64 s[16:17], exec
	s_waitcnt vmcnt(0)
	v_lshlrev_b32_e32 v16, 8, v5
	s_andn2_saveexec_b64 s[18:19], s[4:5]
	s_cbranch_execz .LBB1_604
.LBB1_684:                              ;   in Loop: Header=BB1_584 Depth=2
	v_cmp_eq_u32_e64 s[4:5], 5, v13
	s_andn2_b64 s[16:17], s[16:17], exec
	s_and_b64 s[4:5], s[4:5], exec
	v_mov_b32_e32 v16, 0
	s_or_b64 s[16:17], s[16:17], s[4:5]
	s_or_b64 exec, exec, s[18:19]
	v_mov_b32_e32 v5, 0
	s_and_saveexec_b64 s[4:5], s[16:17]
	s_cbranch_execnz .LBB1_605
	s_branch .LBB1_606
.LBB1_685:                              ;   in Loop: Header=BB1_584 Depth=2
	s_or_b64 exec, exec, s[6:7]
	s_andn2_saveexec_b64 s[4:5], s[4:5]
	s_cbranch_execnz .LBB1_652
	s_branch .LBB1_659
.LBB1_686:                              ;   in Loop: Header=BB1_584 Depth=2
	v_cmp_lt_i32_e32 vcc, 6, v5
	v_mov_b32_e32 v6, v15
	s_and_saveexec_b64 s[6:7], vcc
	s_cbranch_execz .LBB1_688
; %bb.687:                              ;   in Loop: Header=BB1_584 Depth=2
	global_load_ubyte v6, v[0:1], off offset:2
	s_waitcnt vmcnt(0)
	v_lshlrev_b32_e32 v6, 16, v6
	v_xor_b32_e32 v6, v6, v15
.LBB1_688:                              ;   in Loop: Header=BB1_584 Depth=2
	s_or_b64 exec, exec, s[6:7]
	global_load_ubyte v11, v[0:1], off offset:1
	s_mov_b64 s[6:7], exec
	s_waitcnt vmcnt(0)
	v_lshlrev_b32_e32 v11, 8, v11
	v_xor_b32_e32 v6, v11, v6
	s_andn2_saveexec_b64 s[16:17], s[16:17]
	s_cbranch_execz .LBB1_656
.LBB1_689:                              ;   in Loop: Header=BB1_584 Depth=2
	v_cmp_eq_u32_e32 vcc, 5, v5
	s_andn2_b64 s[6:7], s[6:7], exec
	s_and_b64 s[18:19], vcc, exec
	s_or_b64 s[6:7], s[6:7], s[18:19]
	v_mov_b32_e32 v6, v15
	s_or_b64 exec, exec, s[16:17]
	s_and_saveexec_b64 s[16:17], s[6:7]
	s_cbranch_execnz .LBB1_657
	s_branch .LBB1_658
.LBB1_690:                              ;   in Loop: Header=BB1_584 Depth=2
	global_load_ubyte v15, v[5:6], off offset:6
	s_mov_b64 s[16:17], exec
	s_waitcnt vmcnt(0)
	v_lshlrev_b32_e32 v15, 16, v15
	s_andn2_saveexec_b64 s[18:19], s[18:19]
	s_cbranch_execz .LBB1_638
.LBB1_691:                              ;   in Loop: Header=BB1_584 Depth=2
	v_cmp_eq_u32_e32 vcc, 2, v11
	s_andn2_b64 s[16:17], s[16:17], exec
	s_and_b64 s[20:21], vcc, exec
	v_mov_b32_e32 v15, 0
	s_or_b64 s[16:17], s[16:17], s[20:21]
	s_or_b64 exec, exec, s[18:19]
	v_mov_b32_e32 v19, 0
	s_and_saveexec_b64 s[18:19], s[16:17]
	s_cbranch_execnz .LBB1_639
	s_branch .LBB1_640
.LBB1_692:                              ;   in Loop: Header=BB1_584 Depth=2
	v_cmp_eq_u32_e32 vcc, 2, v16
                                        ; implicit-def: $vgpr11
	s_and_saveexec_b64 s[20:21], vcc
	s_cbranch_execz .LBB1_694
; %bb.693:                              ;   in Loop: Header=BB1_584 Depth=2
	global_load_ubyte v11, v[5:6], off offset:5
	s_mov_b64 s[16:17], exec
	s_waitcnt vmcnt(0)
	v_lshlrev_b32_e32 v11, 8, v11
	v_xor_b32_e32 v11, v11, v15
.LBB1_694:                              ;   in Loop: Header=BB1_584 Depth=2
	s_or_b64 exec, exec, s[20:21]
	s_and_b64 s[16:17], s[16:17], exec
                                        ; implicit-def: $vgpr16
	s_andn2_saveexec_b64 s[18:19], s[18:19]
	s_cbranch_execz .LBB1_642
.LBB1_695:                              ;   in Loop: Header=BB1_584 Depth=2
	v_cmp_eq_u32_e32 vcc, 1, v16
	s_andn2_b64 s[16:17], s[16:17], exec
	s_and_b64 s[20:21], vcc, exec
	s_or_b64 s[16:17], s[16:17], s[20:21]
	v_mov_b32_e32 v11, v15
	s_or_b64 exec, exec, s[18:19]
	s_and_saveexec_b64 s[18:19], s[16:17]
	s_cbranch_execnz .LBB1_643
	s_branch .LBB1_644
.LBB1_696:                              ;   in Loop: Header=BB1_584 Depth=2
	global_load_ubyte v5, v[5:6], off offset:5
	s_mov_b64 s[16:17], exec
	s_waitcnt vmcnt(0)
	v_lshlrev_b32_e32 v11, 8, v5
	s_andn2_saveexec_b64 s[18:19], s[18:19]
	s_cbranch_execz .LBB1_648
.LBB1_697:                              ;   in Loop: Header=BB1_584 Depth=2
	v_cmp_eq_u32_e32 vcc, 5, v13
	s_andn2_b64 s[16:17], s[16:17], exec
	s_and_b64 s[20:21], vcc, exec
	v_mov_b32_e32 v11, 0
	s_or_b64 s[16:17], s[16:17], s[20:21]
	s_or_b64 exec, exec, s[18:19]
	v_mov_b32_e32 v5, 0
	s_and_saveexec_b64 s[18:19], s[16:17]
	s_cbranch_execnz .LBB1_649
	s_branch .LBB1_650
.LBB1_698:                              ;   in Loop: Header=BB1_584 Depth=2
	s_and_b64 s[20:21], s[4:5], exec
	s_andn2_saveexec_b64 s[6:7], s[6:7]
	s_cbranch_execz .LBB1_678
.LBB1_699:                              ;   in Loop: Header=BB1_584 Depth=2
	s_andn2_b64 s[20:21], s[20:21], exec
	s_and_b64 s[22:23], vcc, exec
	s_or_b64 s[20:21], s[20:21], s[22:23]
	s_or_b64 exec, exec, s[6:7]
	s_and_saveexec_b64 s[22:23], s[20:21]
	s_cbranch_execz .LBB1_580
.LBB1_700:                              ;   in Loop: Header=BB1_584 Depth=2
	v_add_co_u32_e64 v0, s[6:7], 1, v2
	v_addc_co_u32_e64 v1, s[6:7], 0, v3, s[6:7]
	v_add_co_u32_e64 v2, s[6:7], v2, v4
	v_addc_co_u32_e64 v3, s[6:7], 0, v3, s[6:7]
	global_store_byte v[2:3], v13, off
	v_cmp_ne_u16_e64 s[6:7], 0, v13
	v_mov_b32_e32 v3, v1
	v_addc_co_u32_e64 v7, s[6:7], 0, v7, s[6:7]
	v_mov_b32_e32 v13, v10
	v_mov_b32_e32 v2, v0
	s_branch .LBB1_580
.LBB1_701:                              ;   in Loop: Header=BB1_13 Depth=1
	s_or_b64 exec, exec, s[12:13]
	v_cmp_eq_u16_sdwa s[4:5], v13, s98 src0_sel:BYTE_0 src1_sel:DWORD
	buffer_load_dword v0, off, s[0:3], 0 offset:160 ; 4-byte Folded Reload
	s_waitcnt vmcnt(0)
	v_cmp_gt_i32_e32 vcc, v7, v0
	s_and_saveexec_b64 s[6:7], vcc
	s_cbranch_execnz .LBB1_703
	s_branch .LBB1_707
.LBB1_702:                              ;   in Loop: Header=BB1_13 Depth=1
	v_mov_b32_e32 v7, 0
	s_mov_b64 s[4:5], -1
	buffer_load_dword v0, off, s[0:3], 0 offset:160 ; 4-byte Folded Reload
	s_waitcnt vmcnt(0)
	v_cmp_gt_i32_e32 vcc, v7, v0
	s_and_saveexec_b64 s[6:7], vcc
	s_cbranch_execz .LBB1_707
.LBB1_703:                              ;   in Loop: Header=BB1_13 Depth=1
	v_cmp_lt_i32_e32 vcc, 0, v7
	s_and_saveexec_b64 s[12:13], vcc
	s_cbranch_execz .LBB1_706
; %bb.704:                              ;   in Loop: Header=BB1_13 Depth=1
	v_add_co_u32_e32 v0, vcc, v35, v4
	v_addc_co_u32_e32 v1, vcc, 0, v36, vcc
	s_mov_b64 s[14:15], 0
	s_mov_b64 s[16:17], 0
.LBB1_705:                              ;   Parent Loop BB1_13 Depth=1
                                        ; =>  This Inner Loop Header: Depth=2
	v_mov_b32_e32 v5, s17
	v_add_co_u32_e32 v2, vcc, s16, v0
	v_addc_co_u32_e32 v3, vcc, v1, v5, vcc
	global_load_ubyte v6, v[2:3], off
	v_add_co_u32_e32 v2, vcc, s16, v37
	s_add_u32 s16, s16, 1
	v_addc_co_u32_e32 v3, vcc, v38, v5, vcc
	s_addc_u32 s17, s17, 0
	v_cmp_eq_u32_e32 vcc, s16, v7
	s_or_b64 s[14:15], vcc, s[14:15]
	s_waitcnt vmcnt(0)
	global_store_byte v[2:3], v6, off
	s_andn2_b64 exec, exec, s[14:15]
	s_cbranch_execnz .LBB1_705
.LBB1_706:                              ;   in Loop: Header=BB1_13 Depth=1
	s_or_b64 exec, exec, s[12:13]
	buffer_store_dword v7, off, s[0:3], 0 offset:160 ; 4-byte Folded Spill
.LBB1_707:                              ;   in Loop: Header=BB1_13 Depth=1
	s_or_b64 exec, exec, s[6:7]
	s_xor_b64 s[6:7], s[4:5], -1
	s_mov_b64 s[4:5], 0
	s_and_saveexec_b64 s[12:13], s[6:7]
	s_xor_b64 s[6:7], exec, s[12:13]
	s_cbranch_execz .LBB1_709
; %bb.708:                              ;   in Loop: Header=BB1_13 Depth=1
	buffer_load_dword v0, off, s[0:3], 0 offset:152 ; 4-byte Folded Reload
	s_waitcnt vmcnt(0)
	v_cmp_ne_u32_e32 vcc, -8, v0
	s_and_b64 s[4:5], vcc, exec
                                        ; implicit-def: $vgpr0
                                        ; kill: killed $vgpr0
.LBB1_709:                              ;   in Loop: Header=BB1_13 Depth=1
	s_or_saveexec_b64 s[6:7], s[6:7]
	v_mov_b32_e32 v3, -8
	v_mov_b32_e32 v1, 8
	s_xor_b64 exec, exec, s[6:7]
	s_cbranch_execz .LBB1_711
; %bb.710:                              ;   in Loop: Header=BB1_13 Depth=1
	buffer_load_dword v0, off, s[0:3], 0 offset:152 ; 4-byte Folded Reload
	s_andn2_b64 s[4:5], s[4:5], exec
	v_mov_b32_e32 v3, 8
	v_mov_b32_e32 v1, -8
	s_waitcnt vmcnt(0)
	v_cmp_ne_u32_e32 vcc, 8, v0
	s_and_b64 s[12:13], vcc, exec
	s_or_b64 s[4:5], s[4:5], s[12:13]
.LBB1_711:                              ;   in Loop: Header=BB1_13 Depth=1
	s_or_b64 exec, exec, s[6:7]
	v_mov_b32_e32 v2, 11
	v_mov_b32_e32 v0, 0
	buffer_store_dword v3, off, s[0:3], 0 offset:152 ; 4-byte Folded Spill
	s_and_saveexec_b64 s[6:7], s[4:5]
	s_cbranch_execz .LBB1_713
; %bb.712:                              ;   in Loop: Header=BB1_13 Depth=1
	buffer_load_dword v0, off, s[0:3], 0 offset:156 ; 4-byte Folded Reload
	v_mov_b32_e32 v2, 0
	buffer_store_dword v1, off, s[0:3], 0 offset:152 ; 4-byte Folded Spill
.LBB1_713:                              ;   in Loop: Header=BB1_13 Depth=1
	s_or_b64 exec, exec, s[6:7]
	v_cmp_gt_i32_e32 vcc, 11, v2
	s_mov_b64 s[4:5], -1
	s_and_saveexec_b64 s[6:7], vcc
; %bb.714:                              ;   in Loop: Header=BB1_13 Depth=1
	v_cmp_eq_u32_e32 vcc, 0, v2
	s_orn2_b64 s[4:5], vcc, exec
; %bb.715:                              ;   in Loop: Header=BB1_13 Depth=1
	s_or_b64 exec, exec, s[6:7]
	s_orn2_b64 s[4:5], s[4:5], exec
	s_waitcnt vmcnt(0)
	buffer_store_dword v0, off, s[0:3], 0 offset:156 ; 4-byte Folded Spill
.LBB1_716:                              ;   in Loop: Header=BB1_13 Depth=1
	s_or_b64 exec, exec, s[10:11]
	s_and_saveexec_b64 s[6:7], s[4:5]
	s_cbranch_execz .LBB1_12
; %bb.717:                              ;   in Loop: Header=BB1_13 Depth=1
	buffer_load_dword v1, off, s[0:3], 0 offset:156 ; 4-byte Folded Reload
	v_lshlrev_b32_e32 v0, 2, v58
	v_and_b32_e32 v0, 0x100, v0
	s_mov_b64 s[4:5], -1
	s_waitcnt vmcnt(0)
	ds_bpermute_b32 v1, v0, v1
	s_waitcnt lgkmcnt(0)
	v_cmp_ne_u32_e32 vcc, 0, v1
	buffer_store_dword v1, off, s[0:3], 0 offset:156 ; 4-byte Folded Spill
	s_and_saveexec_b64 s[8:9], vcc
	s_cbranch_execz .LBB1_11
; %bb.718:                              ;   in Loop: Header=BB1_13 Depth=1
	buffer_load_dword v1, off, s[0:3], 0 offset:152 ; 4-byte Folded Reload
	s_waitcnt vmcnt(0)
	ds_bpermute_b32 v1, v0, v1
	buffer_load_dword v0, off, s[0:3], 0 offset:184 ; 4-byte Folded Reload
	s_waitcnt lgkmcnt(0)
	v_add_u32_e32 v4, v1, v4
	v_cmp_gt_i32_e32 vcc, 21, v4
	buffer_store_dword v1, off, s[0:3], 0 offset:152 ; 4-byte Folded Spill
	s_waitcnt vmcnt(1)
	v_cmp_gt_i32_e64 s[4:5], v4, v0
	s_or_b64 s[4:5], vcc, s[4:5]
	s_orn2_b64 s[4:5], s[4:5], exec
	s_branch .LBB1_11
.LBB1_719:
	s_or_b64 exec, exec, s[62:63]
	buffer_load_dword v0, off, s[0:3], 0 offset:160 ; 4-byte Folded Reload
	buffer_load_dword v17, off, s[0:3], 0 offset:188 ; 4-byte Folded Reload
	v_readlane_b32 s22, v63, 0
	v_readlane_b32 s23, v63, 1
	s_waitcnt vmcnt(0)
	v_max_i32_e32 v5, 0, v0
.LBB1_720:
	s_or_b64 exec, exec, s[60:61]
	buffer_load_dword v0, off, s[0:3], 0 offset:72 ; 4-byte Folded Reload
	buffer_load_dword v1, off, s[0:3], 0 offset:76 ; 4-byte Folded Reload
	s_waitcnt vmcnt(0)
	v_cmp_eq_u32_e32 vcc, 0, v0
	s_and_b64 exec, exec, vcc
	s_cbranch_execz .LBB1_722
; %bb.721:
	global_store_dword v17, v5, s[22:23]
.LBB1_722:
	s_endpgm
	.section	.rodata,"a",@progbits
	.p2align	6, 0x0
	.amdhsa_kernel _Z22iterative_walks_kernelILi32EEvPjS0_PcS1_S1_S0_S0_PdP6loc_htS0_P11loc_ht_boolijS0_llliijS1_S1_S0_i
		.amdhsa_group_segment_fixed_size 16384
		.amdhsa_private_segment_fixed_size 208
		.amdhsa_kernarg_size 432
		.amdhsa_user_sgpr_count 8
		.amdhsa_user_sgpr_private_segment_buffer 1
		.amdhsa_user_sgpr_dispatch_ptr 1
		.amdhsa_user_sgpr_queue_ptr 0
		.amdhsa_user_sgpr_kernarg_segment_ptr 1
		.amdhsa_user_sgpr_dispatch_id 0
		.amdhsa_user_sgpr_flat_scratch_init 0
		.amdhsa_user_sgpr_private_segment_size 0
		.amdhsa_uses_dynamic_stack 0
		.amdhsa_system_sgpr_private_segment_wavefront_offset 1
		.amdhsa_system_sgpr_workgroup_id_x 1
		.amdhsa_system_sgpr_workgroup_id_y 0
		.amdhsa_system_sgpr_workgroup_id_z 0
		.amdhsa_system_sgpr_workgroup_info 0
		.amdhsa_system_vgpr_workitem_id 2
		.amdhsa_next_free_vgpr 64
		.amdhsa_next_free_sgpr 100
		.amdhsa_reserve_vcc 1
		.amdhsa_reserve_flat_scratch 0
		.amdhsa_float_round_mode_32 0
		.amdhsa_float_round_mode_16_64 0
		.amdhsa_float_denorm_mode_32 3
		.amdhsa_float_denorm_mode_16_64 3
		.amdhsa_dx10_clamp 1
		.amdhsa_ieee_mode 1
		.amdhsa_fp16_overflow 0
		.amdhsa_exception_fp_ieee_invalid_op 0
		.amdhsa_exception_fp_denorm_src 0
		.amdhsa_exception_fp_ieee_div_zero 0
		.amdhsa_exception_fp_ieee_overflow 0
		.amdhsa_exception_fp_ieee_underflow 0
		.amdhsa_exception_fp_ieee_inexact 0
		.amdhsa_exception_int_div_zero 0
	.end_amdhsa_kernel
	.section	.text._Z22iterative_walks_kernelILi32EEvPjS0_PcS1_S1_S0_S0_PdP6loc_htS0_P11loc_ht_boolijS0_llliijS1_S1_S0_i,"axG",@progbits,_Z22iterative_walks_kernelILi32EEvPjS0_PcS1_S1_S0_S0_PdP6loc_htS0_P11loc_ht_boolijS0_llliijS1_S1_S0_i,comdat
.Lfunc_end1:
	.size	_Z22iterative_walks_kernelILi32EEvPjS0_PcS1_S1_S0_S0_PdP6loc_htS0_P11loc_ht_boolijS0_llliijS1_S1_S0_i, .Lfunc_end1-_Z22iterative_walks_kernelILi32EEvPjS0_PcS1_S1_S0_S0_PdP6loc_htS0_P11loc_ht_boolijS0_llliijS1_S1_S0_i
                                        ; -- End function
	.set _Z22iterative_walks_kernelILi32EEvPjS0_PcS1_S1_S0_S0_PdP6loc_htS0_P11loc_ht_boolijS0_llliijS1_S1_S0_i.num_vgpr, max(64, .L_Z13ht_get_atomicP6loc_ht9cstr_typej.num_vgpr)
	.set _Z22iterative_walks_kernelILi32EEvPjS0_PcS1_S1_S0_S0_PdP6loc_htS0_P11loc_ht_boolijS0_llliijS1_S1_S0_i.num_agpr, max(0, .L_Z13ht_get_atomicP6loc_ht9cstr_typej.num_agpr)
	.set _Z22iterative_walks_kernelILi32EEvPjS0_PcS1_S1_S0_S0_PdP6loc_htS0_P11loc_ht_boolijS0_llliijS1_S1_S0_i.numbered_sgpr, max(100, .L_Z13ht_get_atomicP6loc_ht9cstr_typej.numbered_sgpr)
	.set _Z22iterative_walks_kernelILi32EEvPjS0_PcS1_S1_S0_S0_PdP6loc_htS0_P11loc_ht_boolijS0_llliijS1_S1_S0_i.num_named_barrier, max(0, .L_Z13ht_get_atomicP6loc_ht9cstr_typej.num_named_barrier)
	.set _Z22iterative_walks_kernelILi32EEvPjS0_PcS1_S1_S0_S0_PdP6loc_htS0_P11loc_ht_boolijS0_llliijS1_S1_S0_i.private_seg_size, 208+max(.L_Z13ht_get_atomicP6loc_ht9cstr_typej.private_seg_size)
	.set _Z22iterative_walks_kernelILi32EEvPjS0_PcS1_S1_S0_S0_PdP6loc_htS0_P11loc_ht_boolijS0_llliijS1_S1_S0_i.uses_vcc, or(1, .L_Z13ht_get_atomicP6loc_ht9cstr_typej.uses_vcc)
	.set _Z22iterative_walks_kernelILi32EEvPjS0_PcS1_S1_S0_S0_PdP6loc_htS0_P11loc_ht_boolijS0_llliijS1_S1_S0_i.uses_flat_scratch, or(0, .L_Z13ht_get_atomicP6loc_ht9cstr_typej.uses_flat_scratch)
	.set _Z22iterative_walks_kernelILi32EEvPjS0_PcS1_S1_S0_S0_PdP6loc_htS0_P11loc_ht_boolijS0_llliijS1_S1_S0_i.has_dyn_sized_stack, or(0, .L_Z13ht_get_atomicP6loc_ht9cstr_typej.has_dyn_sized_stack)
	.set _Z22iterative_walks_kernelILi32EEvPjS0_PcS1_S1_S0_S0_PdP6loc_htS0_P11loc_ht_boolijS0_llliijS1_S1_S0_i.has_recursion, or(0, .L_Z13ht_get_atomicP6loc_ht9cstr_typej.has_recursion)
	.set _Z22iterative_walks_kernelILi32EEvPjS0_PcS1_S1_S0_S0_PdP6loc_htS0_P11loc_ht_boolijS0_llliijS1_S1_S0_i.has_indirect_call, or(0, .L_Z13ht_get_atomicP6loc_ht9cstr_typej.has_indirect_call)
	.section	.AMDGPU.csdata,"",@progbits
; Kernel info:
; codeLenInByte = 22660
; TotalNumSgprs: 104
; NumVgprs: 64
; ScratchSize: 208
; MemoryBound: 0
; FloatMode: 240
; IeeeMode: 1
; LDSByteSize: 16384 bytes/workgroup (compile time only)
; SGPRBlocks: 12
; VGPRBlocks: 15
; NumSGPRsForWavesPerEU: 104
; NumVGPRsForWavesPerEU: 64
; Occupancy: 4
; WaveLimiterHint : 1
; COMPUTE_PGM_RSRC2:SCRATCH_EN: 1
; COMPUTE_PGM_RSRC2:USER_SGPR: 8
; COMPUTE_PGM_RSRC2:TRAP_HANDLER: 0
; COMPUTE_PGM_RSRC2:TGID_X_EN: 1
; COMPUTE_PGM_RSRC2:TGID_Y_EN: 0
; COMPUTE_PGM_RSRC2:TGID_Z_EN: 0
; COMPUTE_PGM_RSRC2:TIDIG_COMP_CNT: 2
	.section	.text._Z22iterative_walks_kernelILi64EEvPjS0_PcS1_S1_S0_S0_PdP6loc_htS0_P11loc_ht_boolijS0_llliijS1_S1_S0_i,"axG",@progbits,_Z22iterative_walks_kernelILi64EEvPjS0_PcS1_S1_S0_S0_PdP6loc_htS0_P11loc_ht_boolijS0_llliijS1_S1_S0_i,comdat
	.protected	_Z22iterative_walks_kernelILi64EEvPjS0_PcS1_S1_S0_S0_PdP6loc_htS0_P11loc_ht_boolijS0_llliijS1_S1_S0_i ; -- Begin function _Z22iterative_walks_kernelILi64EEvPjS0_PcS1_S1_S0_S0_PdP6loc_htS0_P11loc_ht_boolijS0_llliijS1_S1_S0_i
	.globl	_Z22iterative_walks_kernelILi64EEvPjS0_PcS1_S1_S0_S0_PdP6loc_htS0_P11loc_ht_boolijS0_llliijS1_S1_S0_i
	.p2align	8
	.type	_Z22iterative_walks_kernelILi64EEvPjS0_PcS1_S1_S0_S0_PdP6loc_htS0_P11loc_ht_boolijS0_llliijS1_S1_S0_i,@function
_Z22iterative_walks_kernelILi64EEvPjS0_PcS1_S1_S0_S0_PdP6loc_htS0_P11loc_ht_boolijS0_llliijS1_S1_S0_i: ; @_Z22iterative_walks_kernelILi64EEvPjS0_PcS1_S1_S0_S0_PdP6loc_htS0_P11loc_ht_boolijS0_llliijS1_S1_S0_i
; %bb.0:
	s_mov_b64 s[34:35], s[6:7]
	s_load_dword s6, s[6:7], 0xbc
	s_nop 0
	s_load_dword s7, s[34:35], 0xa8
	s_add_u32 s0, s0, s9
	s_addc_u32 s1, s1, 0
	s_add_u32 s64, s34, 0xb0
	s_addc_u32 s65, s35, 0
	s_waitcnt lgkmcnt(0)
	s_and_b32 s6, s6, 0xffff
	s_mul_i32 s8, s8, s6
	v_add_u32_e32 v3, s8, v0
	v_lshrrev_b32_e32 v9, 6, v3
	v_cmp_gt_i32_e32 vcc, s7, v9
	s_movk_i32 s32, 0x3400
	s_and_saveexec_b64 s[6:7], vcc
	s_cbranch_execz .LBB2_722
; %bb.1:
	s_load_dwordx16 s[48:63], s[34:35], 0x8
	s_load_dwordx4 s[8:11], s[34:35], 0x48
	s_load_dwordx2 s[16:17], s[34:35], 0x58
	s_load_dwordx2 s[66:67], s[34:35], 0x70
	s_load_dwordx4 s[12:15], s[34:35], 0x90
	v_cmp_lt_u32_e64 s[36:37], 63, v3
                                        ; implicit-def: $vgpr3_vgpr4
                                        ; kill: killed $vgpr3_vgpr4
                                        ; implicit-def: $vgpr3_vgpr4
                                        ; kill: killed $vgpr3_vgpr4
                                        ; implicit-def: $vgpr3
	v_lshlrev_b32_e32 v17, 2, v9
                                        ; kill: killed $vgpr3
                                        ; implicit-def: $vgpr3_vgpr4
                                        ; implicit-def: $vgpr35_vgpr36
                                        ; implicit-def: $vgpr37_vgpr38
                                        ; implicit-def: $vgpr33_vgpr34
                                        ; implicit-def: $vgpr42
                                        ; implicit-def: $vgpr40_vgpr41
                                        ; kill: killed $vgpr3_vgpr4
                                        ; implicit-def: $vgpr39
                                        ; implicit-def: $vgpr3_vgpr4
	s_and_saveexec_b64 s[6:7], s[36:37]
	s_xor_b64 s[18:19], exec, s[6:7]
	s_cbranch_execz .LBB2_7
; %bb.2:
	s_waitcnt lgkmcnt(0)
	global_load_dwordx2 v[7:8], v17, s[48:49] offset:-4
	global_load_dwordx2 v[5:6], v17, s[58:59] offset:-4
	v_lshlrev_b32_e32 v3, 3, v9
	global_load_dwordx2 v[3:4], v3, s[60:61]
	v_mov_b32_e32 v10, s52
	v_mov_b32_e32 v11, s53
	buffer_store_dword v10, off, s[0:3], 0 offset:136 ; 4-byte Folded Spill
	s_nop 0
	buffer_store_dword v11, off, s[0:3], 0 offset:140 ; 4-byte Folded Spill
	s_waitcnt vmcnt(3)
	v_cmp_ne_u32_e32 vcc, 0, v5
	s_and_saveexec_b64 s[20:21], vcc
	s_cbranch_execz .LBB2_4
; %bb.3:
	v_add_u32_e32 v10, -1, v5
	v_mov_b32_e32 v11, 0
	v_lshlrev_b64 v[10:11], 2, v[10:11]
	v_mov_b32_e32 v12, s57
	v_add_co_u32_e64 v10, s[6:7], s56, v10
	v_addc_co_u32_e64 v11, s[6:7], v12, v11, s[6:7]
	global_load_dword v10, v[10:11], off
	v_mov_b32_e32 v11, s53
	s_waitcnt vmcnt(0)
	v_add_co_u32_e64 v10, s[6:7], s52, v10
	v_addc_co_u32_e64 v11, s[6:7], 0, v11, s[6:7]
	buffer_store_dword v10, off, s[0:3], 0 offset:136 ; 4-byte Folded Spill
	s_nop 0
	buffer_store_dword v11, off, s[0:3], 0 offset:140 ; 4-byte Folded Spill
.LBB2_4:
	s_or_b64 exec, exec, s[20:21]
	v_mov_b32_e32 v10, s54
	v_mov_b32_e32 v11, s55
	buffer_store_dword v10, off, s[0:3], 0 offset:144 ; 4-byte Folded Spill
	s_nop 0
	buffer_store_dword v11, off, s[0:3], 0 offset:148 ; 4-byte Folded Spill
	s_and_saveexec_b64 s[6:7], vcc
	s_cbranch_execz .LBB2_6
; %bb.5:
	v_add_u32_e32 v10, -1, v5
	v_mov_b32_e32 v11, 0
	v_lshlrev_b64 v[10:11], 2, v[10:11]
	v_mov_b32_e32 v12, s57
	v_add_co_u32_e32 v10, vcc, s56, v10
	v_addc_co_u32_e32 v11, vcc, v12, v11, vcc
	global_load_dword v10, v[10:11], off
	v_mov_b32_e32 v11, s55
	s_waitcnt vmcnt(0)
	v_add_co_u32_e32 v10, vcc, s54, v10
	v_addc_co_u32_e32 v11, vcc, 0, v11, vcc
	buffer_store_dword v10, off, s[0:3], 0 offset:144 ; 4-byte Folded Spill
	s_nop 0
	buffer_store_dword v11, off, s[0:3], 0 offset:148 ; 4-byte Folded Spill
.LBB2_6:
	s_or_b64 exec, exec, s[6:7]
	global_load_dwordx2 v[10:11], v17, s[8:9] offset:-4
	v_mad_u64_u32 v[12:13], s[6:7], s66, v9, 0
	v_mov_b32_e32 v14, s51
	v_add_co_u32_e32 v15, vcc, s50, v7
	v_mad_u64_u32 v[33:34], s[6:7], v12, 24, s[10:11]
	v_addc_co_u32_e32 v16, vcc, 0, v14, vcc
	v_mad_u64_u32 v[13:14], s[6:7], s67, v9, v[13:14]
	v_sub_u32_e32 v7, v8, v7
	buffer_store_dword v15, off, s[0:3], 0 offset:168 ; 4-byte Folded Spill
	s_nop 0
	buffer_store_dword v16, off, s[0:3], 0 offset:172 ; 4-byte Folded Spill
	buffer_store_dword v7, off, s[0:3], 0 offset:164 ; 4-byte Folded Spill
	v_mov_b32_e32 v7, v34
	v_mad_u64_u32 v[7:8], s[6:7], v13, 24, v[7:8]
	v_mov_b32_e32 v14, s14
	s_add_u32 s6, s66, s17
	v_mov_b32_e32 v15, s15
	v_mad_u64_u32 v[35:36], s[6:7], s6, v9, v[14:15]
	v_mov_b32_e32 v34, v7
	s_addc_u32 s6, s67, 0
	v_mov_b32_e32 v7, v36
	v_mad_u64_u32 v[7:8], s[6:7], s6, v9, v[7:8]
	v_mov_b32_e32 v14, s13
	v_add_co_u32_e32 v37, vcc, s12, v12
	v_addc_co_u32_e32 v38, vcc, v14, v13, vcc
	v_mov_b32_e32 v36, v7
	v_sub_u32_e32 v39, v6, v5
	s_waitcnt vmcnt(3)
	v_mad_u64_u32 v[40:41], s[6:7], v10, 56, s[62:63]
	v_sub_u32_e32 v42, v11, v10
.LBB2_7:
	s_or_saveexec_b64 s[6:7], s[18:19]
	s_load_dwordx2 s[22:23], s[34:35], 0xa0
	s_xor_b64 exec, exec, s[6:7]
	s_cbranch_execz .LBB2_9
; %bb.8:
	s_waitcnt lgkmcnt(0)
	s_load_dwordx2 s[18:19], s[60:61], 0x0
	s_load_dword s17, s[58:59], 0x0
	s_load_dword s20, s[48:49], 0x0
	;; [unrolled: 1-line block ×3, first 2 shown]
	v_mov_b32_e32 v5, s50
	v_mov_b32_e32 v6, s51
	buffer_store_dword v5, off, s[0:3], 0 offset:168 ; 4-byte Folded Spill
	s_nop 0
	buffer_store_dword v6, off, s[0:3], 0 offset:172 ; 4-byte Folded Spill
	s_waitcnt lgkmcnt(0)
	v_mov_b32_e32 v5, s20
	buffer_store_dword v5, off, s[0:3], 0 offset:164 ; 4-byte Folded Spill
	v_mov_b32_e32 v5, s54
	v_mov_b32_e32 v6, s55
	buffer_store_dword v5, off, s[0:3], 0 offset:144 ; 4-byte Folded Spill
	s_nop 0
	buffer_store_dword v6, off, s[0:3], 0 offset:148 ; 4-byte Folded Spill
	v_mov_b32_e32 v3, s18
	v_mov_b32_e32 v40, s62
	;; [unrolled: 1-line block ×14, first 2 shown]
	buffer_store_dword v5, off, s[0:3], 0 offset:136 ; 4-byte Folded Spill
	s_nop 0
	buffer_store_dword v6, off, s[0:3], 0 offset:140 ; 4-byte Folded Spill
.LBB2_9:
	s_or_b64 exec, exec, s[6:7]
	v_and_b32_e32 v5, 63, v0
	buffer_store_dword v5, off, s[0:3], 0 offset:72 ; 4-byte Folded Spill
	s_nop 0
	buffer_store_dword v6, off, s[0:3], 0 offset:76 ; 4-byte Folded Spill
	buffer_load_dword v5, off, s[0:3], 0 offset:164 ; 4-byte Folded Reload
	s_waitcnt lgkmcnt(0)
	s_cmp_gt_i32 s16, 20
	s_cselect_b64 s[6:7], -1, 0
	s_waitcnt vmcnt(0)
	v_min_i32_e32 v5, 0x79, v5
	v_cmp_le_i32_e32 vcc, s16, v5
	buffer_store_dword v5, off, s[0:3], 0 offset:184 ; 4-byte Folded Spill
	s_and_b64 s[6:7], s[6:7], vcc
	v_mov_b32_e32 v5, 0
	s_and_saveexec_b64 s[60:61], s[6:7]
	s_cbranch_execz .LBB2_720
; %bb.10:
	s_load_dwordx2 s[6:7], s[4:5], 0x4
	s_load_dword s33, s[34:35], 0x88
	v_and_b32_e32 v6, 63, v0
	v_mov_b32_e32 v5, s59
	buffer_store_dword v17, off, s[0:3], 0 offset:188 ; 4-byte Folded Spill
	s_waitcnt lgkmcnt(0)
	s_lshr_b32 s4, s6, 16
	s_mul_i32 s4, s4, s7
	v_mul_lo_u32 v0, s4, v0
	s_getpc_b64 s[4:5]
	s_add_u32 s4, s4, .str.3@rel32@lo+4
	s_addc_u32 s5, s5, .str.3@rel32@hi+12
	s_cmp_lg_u64 s[4:5], 0
	s_mov_b32 s4, 0x9999999a
	v_mad_u32_u24 v0, v1, s7, v0
	v_add_lshl_u32 v47, v0, v2, 4
	v_add_co_u32_e32 v0, vcc, s58, v17
	v_addc_co_u32_e32 v1, vcc, 0, v5, vcc
	buffer_store_dword v0, off, s[0:3], 0 offset:64 ; 4-byte Folded Spill
	s_nop 0
	buffer_store_dword v1, off, s[0:3], 0 offset:68 ; 4-byte Folded Spill
	v_cvt_i32_f64_e32 v0, v[3:4]
	s_mov_b32 s5, 0x3fc99999
	v_mov_b32_e32 v45, 0
	v_mov_b32_e32 v7, v45
	v_cvt_f64_i32_e32 v[0:1], v0
	v_cmp_lt_u32_e64 s[38:39], v6, v42
	v_cmp_gt_i64_e64 s[48:49], s[66:67], v[6:7]
	v_cmp_eq_u32_e64 s[50:51], 0, v6
	v_mul_f64 v[2:3], v[0:1], s[4:5]
	s_mov_b32 s4, 0x33333333
	s_mov_b32 s5, 0x3fd33333
	v_mul_f64 v[0:1], v[0:1], s[4:5]
	s_cselect_b64 s[70:71], -1, 0
	s_getpc_b64 s[4:5]
	s_add_u32 s4, s4, .str.4@rel32@lo+4
	s_addc_u32 s5, s5, .str.4@rel32@hi+12
	s_cmp_lg_u64 s[4:5], 0
	s_cselect_b64 s[72:73], -1, 0
	v_max_f64 v[48:49], v[2:3], 2.0
	v_cvt_f32_u32_e32 v2, s66
	s_cmp_gt_i32 s66, 0
	v_max_f64 v[0:1], v[0:1], 2.0
	s_cselect_b64 s[74:75], -1, 0
	s_sub_i32 s4, 0, s66
                                        ; implicit-def: $vgpr63 : SGPR spill to VGPR lane
	v_mov_b32_e32 v54, 1
	buffer_store_dword v0, off, s[0:3], 0 offset:80 ; 4-byte Folded Spill
	s_nop 0
	buffer_store_dword v1, off, s[0:3], 0 offset:84 ; 4-byte Folded Spill
	buffer_store_dword v6, off, s[0:3], 0 offset:72 ; 4-byte Folded Spill
	s_nop 0
	buffer_store_dword v7, off, s[0:3], 0 offset:76 ; 4-byte Folded Spill
	v_cvt_f32_u32_e32 v0, v42
	v_rcp_iflag_f32_e32 v1, v2
	v_writelane_b32 v63, s22, 0
	v_writelane_b32 v63, s23, 1
	v_rcp_iflag_f32_e32 v0, v0
	v_mul_f32_e32 v1, 0x4f7ffffe, v1
	v_cvt_u32_f32_e32 v2, v1
	v_sub_u32_e32 v1, 0, v42
	v_mul_f32_e32 v0, 0x4f7ffffe, v0
	v_cvt_u32_f32_e32 v3, v0
	v_mul_lo_u32 v0, s4, v2
	s_mov_b32 s52, 0
	v_cmp_ne_u32_e64 s[46:47], 0, v39
	v_mul_lo_u32 v1, v1, v3
	v_mul_hi_u32 v4, v2, v0
	s_mov_b64 s[62:63], 0
	s_mov_b32 s45, 16
	v_mul_hi_u32 v5, v3, v1
	v_add_u32_e32 v2, v2, v4
	buffer_store_dword v2, off, s[0:3], 0 offset:88 ; 4-byte Folded Spill
	s_mov_b32 s86, 32
	v_add_u32_e32 v2, v3, v5
	buffer_store_dword v2, off, s[0:3], 0 offset:132 ; 4-byte Folded Spill
	s_mov_b32 s87, 48
	s_movk_i32 s88, 0xff1d
	s_movk_i32 s89, 0x4e
	;; [unrolled: 1-line block ×9, first 2 shown]
	s_mov_b32 s97, 0x5bd1e995
	s_movk_i32 s98, 0x58
	s_movk_i32 s99, 0x57
	v_mov_b32_e32 v53, 2
	v_mov_b32_e32 v43, 33
	v_mov_b32_e32 v50, -1
	v_mov_b32_e32 v4, s16
	v_mad_u64_u32 v[0:1], s[4:5], v6, 56, v[40:41]
	v_add_co_u32_e32 v0, vcc, 8, v0
	v_addc_co_u32_e32 v1, vcc, 0, v1, vcc
	buffer_store_dword v0, off, s[0:3], 0 offset:176 ; 4-byte Folded Spill
	s_nop 0
	buffer_store_dword v1, off, s[0:3], 0 offset:180 ; 4-byte Folded Spill
	v_mbcnt_lo_u32_b32 v0, -1, 0
	v_mbcnt_hi_u32_b32 v58, -1, v0
	v_mov_b32_e32 v0, v45
	buffer_store_dword v0, off, s[0:3], 0 offset:152 ; 4-byte Folded Spill
	v_mov_b32_e32 v0, v54
	buffer_store_dword v0, off, s[0:3], 0 offset:156 ; 4-byte Folded Spill
	;; [unrolled: 2-line block ×3, first 2 shown]
	buffer_store_dword v33, off, s[0:3], 0 offset:92 ; 4-byte Folded Spill
	s_nop 0
	buffer_store_dword v34, off, s[0:3], 0 offset:96 ; 4-byte Folded Spill
	buffer_store_dword v35, off, s[0:3], 0 offset:100 ; 4-byte Folded Spill
	s_nop 0
	buffer_store_dword v36, off, s[0:3], 0 offset:104 ; 4-byte Folded Spill
	;; [unrolled: 3-line block ×3, first 2 shown]
	buffer_store_dword v39, off, s[0:3], 0 offset:116 ; 4-byte Folded Spill
	buffer_store_dword v48, off, s[0:3], 0 offset:120 ; 4-byte Folded Spill
	s_nop 0
	buffer_store_dword v49, off, s[0:3], 0 offset:124 ; 4-byte Folded Spill
	buffer_store_dword v47, off, s[0:3], 0 offset:128 ; 4-byte Folded Spill
	s_branch .LBB2_13
.LBB2_11:                               ;   in Loop: Header=BB2_13 Depth=1
	s_or_b64 exec, exec, s[8:9]
	s_orn2_b64 s[8:9], s[4:5], exec
.LBB2_12:                               ;   in Loop: Header=BB2_13 Depth=1
	s_or_b64 exec, exec, s[6:7]
	s_and_b64 s[4:5], exec, s[8:9]
	s_or_b64 s[62:63], s[4:5], s[62:63]
	s_andn2_b64 exec, exec, s[62:63]
	s_cbranch_execz .LBB2_719
.LBB2_13:                               ; =>This Loop Header: Depth=1
                                        ;     Child Loop BB2_15 Depth 2
                                        ;     Child Loop BB2_20 Depth 2
                                        ;       Child Loop BB2_34 Depth 3
                                        ;         Child Loop BB2_38 Depth 4
                                        ;         Child Loop BB2_46 Depth 4
	;; [unrolled: 1-line block ×9, first 2 shown]
                                        ;           Child Loop BB2_67 Depth 5
                                        ;           Child Loop BB2_75 Depth 5
	;; [unrolled: 1-line block ×11, first 2 shown]
                                        ;     Child Loop BB2_221 Depth 2
                                        ;       Child Loop BB2_330 Depth 3
                                        ;       Child Loop BB2_338 Depth 3
	;; [unrolled: 1-line block ×9, first 2 shown]
                                        ;         Child Loop BB2_431 Depth 4
                                        ;         Child Loop BB2_439 Depth 4
	;; [unrolled: 1-line block ×11, first 2 shown]
                                        ;     Child Loop BB2_574 Depth 2
                                        ;     Child Loop BB2_577 Depth 2
	;; [unrolled: 1-line block ×3, first 2 shown]
                                        ;       Child Loop BB2_590 Depth 3
                                        ;       Child Loop BB2_609 Depth 3
	;; [unrolled: 1-line block ×3, first 2 shown]
                                        ;         Child Loop BB2_620 Depth 4
                                        ;       Child Loop BB2_634 Depth 3
                                        ;       Child Loop BB2_653 Depth 3
	;; [unrolled: 1-line block ×3, first 2 shown]
                                        ;         Child Loop BB2_664 Depth 4
                                        ;     Child Loop BB2_705 Depth 2
	s_and_saveexec_b64 s[6:7], s[38:39]
	s_cbranch_execz .LBB2_16
; %bb.14:                               ;   in Loop: Header=BB2_13 Depth=1
	buffer_load_dword v0, off, s[0:3], 0 offset:176 ; 4-byte Folded Reload
	buffer_load_dword v1, off, s[0:3], 0 offset:180 ; 4-byte Folded Reload
	;; [unrolled: 1-line block ×4, first 2 shown]
	s_mov_b64 s[8:9], 0
	s_waitcnt vmcnt(0)
.LBB2_15:                               ;   Parent Loop BB2_13 Depth=1
                                        ; =>  This Inner Loop Header: Depth=2
	v_add_u32_e32 v2, 64, v2
	global_store_dword v[0:1], v50, off
	v_add_co_u32_e32 v0, vcc, 0xe00, v0
	v_cmp_ge_u32_e64 s[4:5], v2, v42
	s_or_b64 s[8:9], s[4:5], s[8:9]
	v_addc_co_u32_e32 v1, vcc, 0, v1, vcc
	s_andn2_b64 exec, exec, s[8:9]
	s_cbranch_execnz .LBB2_15
.LBB2_16:                               ;   in Loop: Header=BB2_13 Depth=1
	s_or_b64 exec, exec, s[6:7]
	s_and_saveexec_b64 s[76:77], s[46:47]
	s_cbranch_execz .LBB2_217
; %bb.17:                               ;   in Loop: Header=BB2_13 Depth=1
	v_mov_b32_e32 v62, 0
	s_mov_b64 s[78:79], 0
	s_mov_b32 s68, 0
	s_branch .LBB2_20
.LBB2_18:                               ;   in Loop: Header=BB2_20 Depth=2
	s_or_b64 exec, exec, s[82:83]
	buffer_load_dword v33, off, s[0:3], 0 offset:92 ; 4-byte Folded Reload
	buffer_load_dword v34, off, s[0:3], 0 offset:96 ; 4-byte Folded Reload
	;; [unrolled: 1-line block ×10, first 2 shown]
	v_add_u32_e32 v62, v60, v62
	v_mov_b32_e32 v50, -1
.LBB2_19:                               ;   in Loop: Header=BB2_20 Depth=2
	s_or_b64 exec, exec, s[80:81]
	s_add_i32 s68, s68, 1
	s_waitcnt vmcnt(0)
	v_cmp_eq_u32_e32 vcc, s68, v39
	s_or_b64 s[78:79], vcc, s[78:79]
	s_andn2_b64 exec, exec, s[78:79]
	s_cbranch_execz .LBB2_217
.LBB2_20:                               ;   Parent Loop BB2_13 Depth=1
                                        ; =>  This Loop Header: Depth=2
                                        ;       Child Loop BB2_34 Depth 3
                                        ;         Child Loop BB2_38 Depth 4
                                        ;         Child Loop BB2_46 Depth 4
	;; [unrolled: 1-line block ×9, first 2 shown]
                                        ;           Child Loop BB2_67 Depth 5
                                        ;           Child Loop BB2_75 Depth 5
	;; [unrolled: 1-line block ×11, first 2 shown]
	s_cmp_lg_u32 s68, 0
	s_cbranch_scc0 .LBB2_23
; %bb.21:                               ;   in Loop: Header=BB2_20 Depth=2
	buffer_load_dword v0, off, s[0:3], 0 offset:64 ; 4-byte Folded Reload
	buffer_load_dword v1, off, s[0:3], 0 offset:68 ; 4-byte Folded Reload
	v_mov_b32_e32 v5, s57
	v_mov_b32_e32 v6, s57
	s_waitcnt vmcnt(0)
	global_load_dword v0, v[0:1], off
	s_waitcnt vmcnt(0)
	v_sub_u32_e32 v0, v0, v39
	v_add_u32_e32 v44, s68, v0
	v_lshlrev_b64 v[0:1], 2, v[44:45]
	v_add_u32_e32 v44, -1, v44
	v_lshlrev_b64 v[2:3], 2, v[44:45]
	v_add_co_u32_e32 v0, vcc, s56, v0
	v_addc_co_u32_e32 v1, vcc, v5, v1, vcc
	v_add_co_u32_e32 v2, vcc, s56, v2
	v_addc_co_u32_e32 v3, vcc, v6, v3, vcc
	global_load_dword v0, v[0:1], off
	s_nop 0
	global_load_dword v1, v[2:3], off
	s_waitcnt vmcnt(0)
	v_sub_u32_e32 v60, v0, v1
	s_cbranch_execz .LBB2_24
; %bb.22:                               ;   in Loop: Header=BB2_20 Depth=2
	v_cmp_ge_i32_e32 vcc, v60, v4
	s_and_saveexec_b64 s[80:81], vcc
	s_cbranch_execz .LBB2_19
	s_branch .LBB2_31
.LBB2_23:                               ;   in Loop: Header=BB2_20 Depth=2
                                        ; implicit-def: $vgpr60
.LBB2_24:                               ;   in Loop: Header=BB2_20 Depth=2
                                        ; implicit-def: $vgpr60
	s_and_saveexec_b64 s[4:5], s[36:37]
	s_xor_b64 s[4:5], exec, s[4:5]
	s_cbranch_execz .LBB2_28
; %bb.25:                               ;   in Loop: Header=BB2_20 Depth=2
	buffer_load_dword v0, off, s[0:3], 0 offset:64 ; 4-byte Folded Reload
	buffer_load_dword v1, off, s[0:3], 0 offset:68 ; 4-byte Folded Reload
	v_mov_b32_e32 v3, s57
	s_waitcnt vmcnt(0)
	global_load_dwordx2 v[0:1], v[0:1], off offset:-4
	s_waitcnt vmcnt(0)
	v_sub_u32_e32 v44, v1, v39
	v_lshlrev_b64 v[1:2], 2, v[44:45]
	v_add_co_u32_e32 v1, vcc, s56, v1
	v_addc_co_u32_e32 v2, vcc, v3, v2, vcc
	global_load_dword v60, v[1:2], off
	v_cmp_ne_u32_e32 vcc, 0, v0
	s_and_saveexec_b64 s[6:7], vcc
	s_cbranch_execz .LBB2_27
; %bb.26:                               ;   in Loop: Header=BB2_20 Depth=2
	v_add_u32_e32 v44, -1, v0
	v_lshlrev_b64 v[0:1], 2, v[44:45]
	v_mov_b32_e32 v2, s57
	v_add_co_u32_e32 v0, vcc, s56, v0
	v_addc_co_u32_e32 v1, vcc, v2, v1, vcc
	global_load_dword v0, v[0:1], off
	s_waitcnt vmcnt(0)
	v_sub_u32_e32 v60, v60, v0
.LBB2_27:                               ;   in Loop: Header=BB2_20 Depth=2
	s_or_b64 exec, exec, s[6:7]
.LBB2_28:                               ;   in Loop: Header=BB2_20 Depth=2
	s_andn2_saveexec_b64 s[4:5], s[4:5]
	s_cbranch_execz .LBB2_30
; %bb.29:                               ;   in Loop: Header=BB2_20 Depth=2
	global_load_dword v0, v45, s[58:59]
	v_mov_b32_e32 v2, s57
	s_waitcnt vmcnt(0)
	v_sub_u32_e32 v44, v0, v39
	v_lshlrev_b64 v[0:1], 2, v[44:45]
	v_add_co_u32_e32 v0, vcc, s56, v0
	v_addc_co_u32_e32 v1, vcc, v2, v1, vcc
	global_load_dword v60, v[0:1], off
.LBB2_30:                               ;   in Loop: Header=BB2_20 Depth=2
	s_or_b64 exec, exec, s[4:5]
	s_waitcnt vmcnt(0)
	v_cmp_ge_i32_e32 vcc, v60, v4
	s_and_saveexec_b64 s[80:81], vcc
	s_cbranch_execz .LBB2_19
.LBB2_31:                               ;   in Loop: Header=BB2_20 Depth=2
	buffer_load_dword v0, off, s[0:3], 0 offset:72 ; 4-byte Folded Reload
	buffer_load_dword v1, off, s[0:3], 0 offset:76 ; 4-byte Folded Reload
	v_sub_u32_e32 v47, v60, v4
	s_waitcnt vmcnt(0)
	v_cmp_lt_i32_e32 vcc, v0, v47
	s_and_saveexec_b64 s[82:83], vcc
	s_cbranch_execz .LBB2_18
; %bb.32:                               ;   in Loop: Header=BB2_20 Depth=2
	buffer_load_dword v0, off, s[0:3], 0 offset:136 ; 4-byte Folded Reload
	buffer_load_dword v1, off, s[0:3], 0 offset:140 ; 4-byte Folded Reload
	v_mov_b32_e32 v2, v62
	s_mov_b64 s[84:85], 0
	s_waitcnt vmcnt(0)
	v_add_co_u32_e32 v55, vcc, v0, v2
	s_waitcnt vmcnt(0)
	v_addc_co_u32_e32 v56, vcc, 0, v1, vcc
	buffer_load_dword v0, off, s[0:3], 0 offset:144 ; 4-byte Folded Reload
	buffer_load_dword v1, off, s[0:3], 0 offset:148 ; 4-byte Folded Reload
	s_waitcnt vmcnt(0)
	v_add_co_u32_e32 v59, vcc, v0, v2
	s_waitcnt vmcnt(0)
	v_addc_co_u32_e32 v57, vcc, 0, v1, vcc
	buffer_load_dword v0, off, s[0:3], 0 offset:72 ; 4-byte Folded Reload
	buffer_load_dword v1, off, s[0:3], 0 offset:76 ; 4-byte Folded Reload
	s_waitcnt vmcnt(0)
	v_mov_b32_e32 v61, v0
	s_branch .LBB2_34
.LBB2_33:                               ;   in Loop: Header=BB2_34 Depth=3
	s_or_b64 exec, exec, s[4:5]
	v_add_u32_e32 v61, 64, v61
	v_cmp_ge_i32_e32 vcc, v61, v47
	s_or_b64 s[84:85], vcc, s[84:85]
	s_andn2_b64 exec, exec, s[84:85]
	s_cbranch_execz .LBB2_18
.LBB2_34:                               ;   Parent Loop BB2_13 Depth=1
                                        ;     Parent Loop BB2_20 Depth=2
                                        ; =>    This Loop Header: Depth=3
                                        ;         Child Loop BB2_38 Depth 4
                                        ;         Child Loop BB2_46 Depth 4
	;; [unrolled: 1-line block ×9, first 2 shown]
                                        ;           Child Loop BB2_67 Depth 5
                                        ;           Child Loop BB2_75 Depth 5
	;; [unrolled: 1-line block ×11, first 2 shown]
	s_add_u32 s8, s34, 0xb0
	v_add_co_u32_e32 v2, vcc, v55, v61
	s_addc_u32 s9, s35, 0
	v_addc_co_u32_e32 v3, vcc, 0, v56, vcc
	s_getpc_b64 s[4:5]
	s_add_u32 s4, s4, _Z13ht_get_atomicP6loc_ht9cstr_typej@rel32@lo+4
	s_addc_u32 s5, s5, _Z13ht_get_atomicP6loc_ht9cstr_typej@rel32@hi+12
	v_mov_b32_e32 v0, v40
	s_waitcnt vmcnt(0)
	v_mov_b32_e32 v1, v41
	v_mov_b32_e32 v5, v42
	s_swappc_b64 s[30:31], s[4:5]
	v_add_u32_e32 v27, v61, v4
	v_cmp_ge_i32_e32 vcc, v27, v60
	s_and_saveexec_b64 s[6:7], vcc
	s_cbranch_execz .LBB2_174
; %bb.35:                               ;   in Loop: Header=BB2_34 Depth=3
	s_load_dwordx2 s[8:9], s[64:65], 0x50
	v_readfirstlane_b32 s4, v58
	v_mov_b32_e32 v2, 0
	v_mov_b32_e32 v3, 0
	v_cmp_eq_u32_e64 s[4:5], s4, v58
	s_and_saveexec_b64 s[10:11], s[4:5]
	s_cbranch_execz .LBB2_41
; %bb.36:                               ;   in Loop: Header=BB2_34 Depth=3
	s_waitcnt lgkmcnt(0)
	global_load_dwordx2 v[7:8], v45, s[8:9] offset:24 glc
	s_waitcnt vmcnt(0)
	buffer_wbinvl1_vol
	global_load_dwordx2 v[2:3], v45, s[8:9] offset:40
	global_load_dwordx2 v[5:6], v45, s[8:9]
	s_waitcnt vmcnt(1)
	v_and_b32_e32 v2, v2, v7
	v_and_b32_e32 v3, v3, v8
	v_mul_lo_u32 v3, v3, 24
	v_mul_hi_u32 v9, v2, 24
	v_mul_lo_u32 v2, v2, 24
	v_add_u32_e32 v3, v9, v3
	s_waitcnt vmcnt(0)
	v_add_co_u32_e32 v2, vcc, v5, v2
	v_addc_co_u32_e32 v3, vcc, v6, v3, vcc
	global_load_dwordx2 v[5:6], v[2:3], off glc
	s_waitcnt vmcnt(0)
	global_atomic_cmpswap_x2 v[2:3], v45, v[5:8], s[8:9] offset:24 glc
	s_waitcnt vmcnt(0)
	buffer_wbinvl1_vol
	v_cmp_ne_u64_e32 vcc, v[2:3], v[7:8]
	s_and_saveexec_b64 s[12:13], vcc
	s_cbranch_execz .LBB2_40
; %bb.37:                               ;   in Loop: Header=BB2_34 Depth=3
	s_mov_b64 s[14:15], 0
.LBB2_38:                               ;   Parent Loop BB2_13 Depth=1
                                        ;     Parent Loop BB2_20 Depth=2
                                        ;       Parent Loop BB2_34 Depth=3
                                        ; =>      This Inner Loop Header: Depth=4
	s_sleep 1
	global_load_dwordx2 v[5:6], v45, s[8:9] offset:40
	global_load_dwordx2 v[9:10], v45, s[8:9]
	v_mov_b32_e32 v8, v3
	v_mov_b32_e32 v7, v2
	s_waitcnt vmcnt(1)
	v_and_b32_e32 v2, v5, v7
	s_waitcnt vmcnt(0)
	v_mad_u64_u32 v[2:3], s[16:17], v2, 24, v[9:10]
	v_and_b32_e32 v5, v6, v8
	v_mad_u64_u32 v[5:6], s[16:17], v5, 24, v[3:4]
	v_mov_b32_e32 v3, v5
	global_load_dwordx2 v[5:6], v[2:3], off glc
	s_waitcnt vmcnt(0)
	global_atomic_cmpswap_x2 v[2:3], v45, v[5:8], s[8:9] offset:24 glc
	s_waitcnt vmcnt(0)
	buffer_wbinvl1_vol
	v_cmp_eq_u64_e32 vcc, v[2:3], v[7:8]
	s_or_b64 s[14:15], vcc, s[14:15]
	s_andn2_b64 exec, exec, s[14:15]
	s_cbranch_execnz .LBB2_38
; %bb.39:                               ;   in Loop: Header=BB2_34 Depth=3
	s_or_b64 exec, exec, s[14:15]
.LBB2_40:                               ;   in Loop: Header=BB2_34 Depth=3
	s_or_b64 exec, exec, s[12:13]
.LBB2_41:                               ;   in Loop: Header=BB2_34 Depth=3
	s_or_b64 exec, exec, s[10:11]
	s_waitcnt lgkmcnt(0)
	global_load_dwordx2 v[9:10], v45, s[8:9] offset:40
	global_load_dwordx4 v[5:8], v45, s[8:9]
	v_readfirstlane_b32 s11, v3
	v_readfirstlane_b32 s10, v2
	s_mov_b64 s[12:13], exec
	s_waitcnt vmcnt(1)
	v_readfirstlane_b32 s14, v9
	v_readfirstlane_b32 s15, v10
	s_and_b64 s[14:15], s[14:15], s[10:11]
	s_mul_i32 s16, s15, 24
	s_mul_hi_u32 s17, s14, 24
	s_mul_i32 s18, s14, 24
	s_add_i32 s16, s17, s16
	v_mov_b32_e32 v3, s16
	s_waitcnt vmcnt(0)
	v_add_co_u32_e32 v2, vcc, s18, v5
	v_addc_co_u32_e32 v3, vcc, v6, v3, vcc
	s_and_saveexec_b64 s[16:17], s[4:5]
	s_cbranch_execz .LBB2_43
; %bb.42:                               ;   in Loop: Header=BB2_34 Depth=3
	v_mov_b32_e32 v52, s13
	v_mov_b32_e32 v51, s12
	global_store_dwordx4 v[2:3], v[51:54], off offset:8
.LBB2_43:                               ;   in Loop: Header=BB2_34 Depth=3
	s_or_b64 exec, exec, s[16:17]
	s_lshl_b64 s[12:13], s[14:15], 12
	v_mov_b32_e32 v9, s13
	v_add_co_u32_e32 v11, vcc, s12, v7
	v_addc_co_u32_e32 v12, vcc, v8, v9, vcc
	s_mov_b32 s53, s52
	s_mov_b32 s54, s52
	;; [unrolled: 1-line block ×3, first 2 shown]
	v_mov_b32_e32 v7, s52
	v_lshlrev_b32_e32 v28, 6, v58
	v_mov_b32_e32 v44, v45
	v_mov_b32_e32 v46, v45
	v_readfirstlane_b32 s12, v11
	v_readfirstlane_b32 s13, v12
	v_mov_b32_e32 v8, s53
	v_mov_b32_e32 v9, s54
	;; [unrolled: 1-line block ×3, first 2 shown]
	s_nop 1
	global_store_dwordx4 v28, v[43:46], s[12:13]
	global_store_dwordx4 v28, v[7:10], s[12:13] offset:16
	global_store_dwordx4 v28, v[7:10], s[12:13] offset:32
	;; [unrolled: 1-line block ×3, first 2 shown]
	s_and_saveexec_b64 s[12:13], s[4:5]
	s_cbranch_execz .LBB2_51
; %bb.44:                               ;   in Loop: Header=BB2_34 Depth=3
	global_load_dwordx2 v[15:16], v45, s[8:9] offset:32 glc
	global_load_dwordx2 v[7:8], v45, s[8:9] offset:40
	v_mov_b32_e32 v13, s10
	v_mov_b32_e32 v14, s11
	s_waitcnt vmcnt(0)
	v_and_b32_e32 v7, s10, v7
	v_and_b32_e32 v8, s11, v8
	v_mul_lo_u32 v8, v8, 24
	v_mul_hi_u32 v9, v7, 24
	v_mul_lo_u32 v7, v7, 24
	v_add_u32_e32 v8, v9, v8
	v_add_co_u32_e32 v9, vcc, v5, v7
	v_addc_co_u32_e32 v10, vcc, v6, v8, vcc
	global_store_dwordx2 v[9:10], v[15:16], off
	s_waitcnt vmcnt(0)
	global_atomic_cmpswap_x2 v[7:8], v45, v[13:16], s[8:9] offset:32 glc
	s_waitcnt vmcnt(0)
	v_cmp_ne_u64_e32 vcc, v[7:8], v[15:16]
	s_and_saveexec_b64 s[14:15], vcc
	s_cbranch_execz .LBB2_47
; %bb.45:                               ;   in Loop: Header=BB2_34 Depth=3
	s_mov_b64 s[16:17], 0
.LBB2_46:                               ;   Parent Loop BB2_13 Depth=1
                                        ;     Parent Loop BB2_20 Depth=2
                                        ;       Parent Loop BB2_34 Depth=3
                                        ; =>      This Inner Loop Header: Depth=4
	s_sleep 1
	global_store_dwordx2 v[9:10], v[7:8], off
	v_mov_b32_e32 v5, s10
	v_mov_b32_e32 v6, s11
	s_waitcnt vmcnt(0)
	global_atomic_cmpswap_x2 v[5:6], v45, v[5:8], s[8:9] offset:32 glc
	s_waitcnt vmcnt(0)
	v_cmp_eq_u64_e32 vcc, v[5:6], v[7:8]
	v_mov_b32_e32 v8, v6
	s_or_b64 s[16:17], vcc, s[16:17]
	v_mov_b32_e32 v7, v5
	s_andn2_b64 exec, exec, s[16:17]
	s_cbranch_execnz .LBB2_46
.LBB2_47:                               ;   in Loop: Header=BB2_34 Depth=3
	s_or_b64 exec, exec, s[14:15]
	global_load_dwordx2 v[5:6], v45, s[8:9] offset:16
	s_mov_b64 s[16:17], exec
	v_mbcnt_lo_u32_b32 v7, s16, 0
	v_mbcnt_hi_u32_b32 v7, s17, v7
	v_cmp_eq_u32_e32 vcc, 0, v7
	s_and_saveexec_b64 s[14:15], vcc
	s_cbranch_execz .LBB2_49
; %bb.48:                               ;   in Loop: Header=BB2_34 Depth=3
	s_bcnt1_i32_b64 s16, s[16:17]
	v_mov_b32_e32 v44, s16
	s_waitcnt vmcnt(0)
	global_atomic_add_x2 v[5:6], v[44:45], off offset:8
.LBB2_49:                               ;   in Loop: Header=BB2_34 Depth=3
	s_or_b64 exec, exec, s[14:15]
	s_waitcnt vmcnt(0)
	global_load_dwordx2 v[7:8], v[5:6], off offset:16
	s_waitcnt vmcnt(0)
	v_cmp_eq_u64_e32 vcc, 0, v[7:8]
	s_cbranch_vccnz .LBB2_51
; %bb.50:                               ;   in Loop: Header=BB2_34 Depth=3
	global_load_dword v44, v[5:6], off offset:24
	s_waitcnt vmcnt(0)
	v_readfirstlane_b32 s14, v44
	s_and_b32 m0, s14, 0xffffff
	global_store_dwordx2 v[7:8], v[44:45], off
	s_sendmsg sendmsg(MSG_INTERRUPT)
.LBB2_51:                               ;   in Loop: Header=BB2_34 Depth=3
	s_or_b64 exec, exec, s[12:13]
	v_add_co_u32_e32 v5, vcc, v11, v28
	v_addc_co_u32_e32 v6, vcc, 0, v12, vcc
	s_branch .LBB2_55
.LBB2_52:                               ;   in Loop: Header=BB2_55 Depth=4
	s_or_b64 exec, exec, s[12:13]
	v_readfirstlane_b32 s12, v7
	s_cmp_eq_u32 s12, 0
	s_cbranch_scc1 .LBB2_54
; %bb.53:                               ;   in Loop: Header=BB2_55 Depth=4
	s_sleep 1
	s_cbranch_execnz .LBB2_55
	s_branch .LBB2_57
.LBB2_54:                               ;   in Loop: Header=BB2_34 Depth=3
	s_branch .LBB2_57
.LBB2_55:                               ;   Parent Loop BB2_13 Depth=1
                                        ;     Parent Loop BB2_20 Depth=2
                                        ;       Parent Loop BB2_34 Depth=3
                                        ; =>      This Inner Loop Header: Depth=4
	v_mov_b32_e32 v7, 1
	s_and_saveexec_b64 s[12:13], s[4:5]
	s_cbranch_execz .LBB2_52
; %bb.56:                               ;   in Loop: Header=BB2_55 Depth=4
	global_load_dword v7, v[2:3], off offset:20 glc
	s_waitcnt vmcnt(0)
	buffer_wbinvl1_vol
	v_and_b32_e32 v7, 1, v7
	s_branch .LBB2_52
.LBB2_57:                               ;   in Loop: Header=BB2_34 Depth=3
	global_load_dwordx2 v[5:6], v[5:6], off
	s_and_saveexec_b64 s[12:13], s[4:5]
	s_cbranch_execz .LBB2_61
; %bb.58:                               ;   in Loop: Header=BB2_34 Depth=3
	global_load_dwordx2 v[2:3], v45, s[8:9] offset:40
	global_load_dwordx2 v[11:12], v45, s[8:9] offset:24 glc
	global_load_dwordx2 v[7:8], v45, s[8:9]
	s_waitcnt vmcnt(2)
	v_readfirstlane_b32 s14, v2
	v_readfirstlane_b32 s15, v3
	s_add_u32 s16, s14, 1
	s_addc_u32 s17, s15, 0
	s_add_u32 s4, s16, s10
	s_addc_u32 s5, s17, s11
	s_cmp_eq_u64 s[4:5], 0
	s_cselect_b32 s5, s17, s5
	s_cselect_b32 s4, s16, s4
	s_and_b64 s[10:11], s[4:5], s[14:15]
	s_mul_i32 s11, s11, 24
	s_mul_hi_u32 s14, s10, 24
	s_mul_i32 s10, s10, 24
	s_add_i32 s11, s14, s11
	v_mov_b32_e32 v3, s11
	s_waitcnt vmcnt(0)
	v_add_co_u32_e32 v2, vcc, s10, v7
	v_addc_co_u32_e32 v3, vcc, v8, v3, vcc
	v_mov_b32_e32 v9, s4
	global_store_dwordx2 v[2:3], v[11:12], off
	v_mov_b32_e32 v10, s5
	s_waitcnt vmcnt(0)
	global_atomic_cmpswap_x2 v[9:10], v45, v[9:12], s[8:9] offset:24 glc
	s_waitcnt vmcnt(0)
	v_cmp_ne_u64_e32 vcc, v[9:10], v[11:12]
	s_and_b64 exec, exec, vcc
	s_cbranch_execz .LBB2_61
; %bb.59:                               ;   in Loop: Header=BB2_34 Depth=3
	s_mov_b64 s[10:11], 0
.LBB2_60:                               ;   Parent Loop BB2_13 Depth=1
                                        ;     Parent Loop BB2_20 Depth=2
                                        ;       Parent Loop BB2_34 Depth=3
                                        ; =>      This Inner Loop Header: Depth=4
	s_sleep 1
	global_store_dwordx2 v[2:3], v[9:10], off
	v_mov_b32_e32 v7, s4
	v_mov_b32_e32 v8, s5
	s_waitcnt vmcnt(0)
	global_atomic_cmpswap_x2 v[7:8], v45, v[7:10], s[8:9] offset:24 glc
	s_waitcnt vmcnt(0)
	v_cmp_eq_u64_e32 vcc, v[7:8], v[9:10]
	v_mov_b32_e32 v10, v8
	s_or_b64 s[10:11], vcc, s[10:11]
	v_mov_b32_e32 v9, v7
	s_andn2_b64 exec, exec, s[10:11]
	s_cbranch_execnz .LBB2_60
.LBB2_61:                               ;   in Loop: Header=BB2_34 Depth=3
	s_or_b64 exec, exec, s[12:13]
	s_and_b64 vcc, exec, s[70:71]
	s_cbranch_vccz .LBB2_147
; %bb.62:                               ;   in Loop: Header=BB2_34 Depth=3
	s_waitcnt vmcnt(0)
	v_and_b32_e32 v7, -3, v5
	v_mov_b32_e32 v8, v6
	s_mov_b64 s[12:13], 45
	s_getpc_b64 s[10:11]
	s_add_u32 s10, s10, .str.3@rel32@lo+4
	s_addc_u32 s11, s11, .str.3@rel32@hi+12
	s_branch .LBB2_64
.LBB2_63:                               ;   in Loop: Header=BB2_64 Depth=4
	s_or_b64 exec, exec, s[18:19]
	s_sub_u32 s12, s12, s14
	s_subb_u32 s13, s13, s15
	s_add_u32 s10, s10, s14
	s_addc_u32 s11, s11, s15
	s_cmp_lg_u64 s[12:13], 0
	s_cbranch_scc0 .LBB2_146
.LBB2_64:                               ;   Parent Loop BB2_13 Depth=1
                                        ;     Parent Loop BB2_20 Depth=2
                                        ;       Parent Loop BB2_34 Depth=3
                                        ; =>      This Loop Header: Depth=4
                                        ;           Child Loop BB2_67 Depth 5
                                        ;           Child Loop BB2_75 Depth 5
	;; [unrolled: 1-line block ×11, first 2 shown]
	v_cmp_lt_u64_e64 s[4:5], s[12:13], 56
	v_cmp_gt_u64_e64 s[16:17], s[12:13], 7
	s_and_b64 s[4:5], s[4:5], exec
	s_cselect_b32 s15, s13, 0
	s_cselect_b32 s14, s12, 56
	s_add_u32 s4, s10, 8
	s_addc_u32 s5, s11, 0
	s_and_b64 vcc, exec, s[16:17]
	s_cbranch_vccnz .LBB2_68
; %bb.65:                               ;   in Loop: Header=BB2_64 Depth=4
	s_cmp_eq_u64 s[12:13], 0
	s_cbranch_scc1 .LBB2_69
; %bb.66:                               ;   in Loop: Header=BB2_64 Depth=4
	s_waitcnt vmcnt(0)
	v_mov_b32_e32 v9, 0
	s_lshl_b64 s[4:5], s[14:15], 3
	s_mov_b64 s[16:17], 0
	v_mov_b32_e32 v10, 0
	s_mov_b64 s[18:19], s[10:11]
.LBB2_67:                               ;   Parent Loop BB2_13 Depth=1
                                        ;     Parent Loop BB2_20 Depth=2
                                        ;       Parent Loop BB2_34 Depth=3
                                        ;         Parent Loop BB2_64 Depth=4
                                        ; =>        This Inner Loop Header: Depth=5
	global_load_ubyte v2, v45, s[18:19]
	s_waitcnt vmcnt(0)
	v_and_b32_e32 v44, 0xffff, v2
	v_lshlrev_b64 v[2:3], s16, v[44:45]
	s_add_u32 s16, s16, 8
	s_addc_u32 s17, s17, 0
	s_add_u32 s18, s18, 1
	s_addc_u32 s19, s19, 0
	v_or_b32_e32 v9, v2, v9
	s_cmp_lg_u32 s4, s16
	v_or_b32_e32 v10, v3, v10
	s_cbranch_scc1 .LBB2_67
	s_branch .LBB2_70
.LBB2_68:                               ;   in Loop: Header=BB2_64 Depth=4
	s_mov_b32 s21, 0
	s_branch .LBB2_71
.LBB2_69:                               ;   in Loop: Header=BB2_64 Depth=4
	s_waitcnt vmcnt(0)
	v_mov_b32_e32 v9, 0
	v_mov_b32_e32 v10, 0
.LBB2_70:                               ;   in Loop: Header=BB2_64 Depth=4
	s_mov_b64 s[4:5], s[10:11]
	s_mov_b32 s21, 0
	s_cbranch_execnz .LBB2_72
.LBB2_71:                               ;   in Loop: Header=BB2_64 Depth=4
	global_load_dwordx2 v[9:10], v45, s[10:11]
	s_add_i32 s21, s14, -8
.LBB2_72:                               ;   in Loop: Header=BB2_64 Depth=4
	s_add_u32 s16, s4, 8
	s_addc_u32 s17, s5, 0
	s_cmp_gt_u32 s21, 7
	s_cbranch_scc1 .LBB2_76
; %bb.73:                               ;   in Loop: Header=BB2_64 Depth=4
	s_cmp_eq_u32 s21, 0
	s_cbranch_scc1 .LBB2_77
; %bb.74:                               ;   in Loop: Header=BB2_64 Depth=4
	v_mov_b32_e32 v11, 0
	s_mov_b64 s[16:17], 0
	v_mov_b32_e32 v12, 0
	s_mov_b64 s[18:19], 0
.LBB2_75:                               ;   Parent Loop BB2_13 Depth=1
                                        ;     Parent Loop BB2_20 Depth=2
                                        ;       Parent Loop BB2_34 Depth=3
                                        ;         Parent Loop BB2_64 Depth=4
                                        ; =>        This Inner Loop Header: Depth=5
	s_add_u32 s22, s4, s18
	s_addc_u32 s23, s5, s19
	global_load_ubyte v2, v45, s[22:23]
	s_add_u32 s18, s18, 1
	s_addc_u32 s19, s19, 0
	s_waitcnt vmcnt(0)
	v_and_b32_e32 v44, 0xffff, v2
	v_lshlrev_b64 v[2:3], s16, v[44:45]
	s_add_u32 s16, s16, 8
	s_addc_u32 s17, s17, 0
	v_or_b32_e32 v11, v2, v11
	s_cmp_lg_u32 s21, s18
	v_or_b32_e32 v12, v3, v12
	s_cbranch_scc1 .LBB2_75
	s_branch .LBB2_78
.LBB2_76:                               ;   in Loop: Header=BB2_64 Depth=4
                                        ; implicit-def: $vgpr11_vgpr12
	s_mov_b32 s20, 0
	s_branch .LBB2_79
.LBB2_77:                               ;   in Loop: Header=BB2_64 Depth=4
	v_mov_b32_e32 v11, 0
	v_mov_b32_e32 v12, 0
.LBB2_78:                               ;   in Loop: Header=BB2_64 Depth=4
	s_mov_b64 s[16:17], s[4:5]
	s_mov_b32 s20, 0
	s_cbranch_execnz .LBB2_80
.LBB2_79:                               ;   in Loop: Header=BB2_64 Depth=4
	global_load_dwordx2 v[11:12], v45, s[4:5]
	s_add_i32 s20, s21, -8
.LBB2_80:                               ;   in Loop: Header=BB2_64 Depth=4
	s_add_u32 s4, s16, 8
	s_addc_u32 s5, s17, 0
	s_cmp_gt_u32 s20, 7
	s_cbranch_scc1 .LBB2_84
; %bb.81:                               ;   in Loop: Header=BB2_64 Depth=4
	s_cmp_eq_u32 s20, 0
	s_cbranch_scc1 .LBB2_85
; %bb.82:                               ;   in Loop: Header=BB2_64 Depth=4
	v_mov_b32_e32 v13, 0
	s_mov_b64 s[4:5], 0
	v_mov_b32_e32 v14, 0
	s_mov_b64 s[18:19], 0
.LBB2_83:                               ;   Parent Loop BB2_13 Depth=1
                                        ;     Parent Loop BB2_20 Depth=2
                                        ;       Parent Loop BB2_34 Depth=3
                                        ;         Parent Loop BB2_64 Depth=4
                                        ; =>        This Inner Loop Header: Depth=5
	s_add_u32 s22, s16, s18
	s_addc_u32 s23, s17, s19
	global_load_ubyte v2, v45, s[22:23]
	s_add_u32 s18, s18, 1
	s_addc_u32 s19, s19, 0
	s_waitcnt vmcnt(0)
	v_and_b32_e32 v44, 0xffff, v2
	v_lshlrev_b64 v[2:3], s4, v[44:45]
	s_add_u32 s4, s4, 8
	s_addc_u32 s5, s5, 0
	v_or_b32_e32 v13, v2, v13
	s_cmp_lg_u32 s20, s18
	v_or_b32_e32 v14, v3, v14
	s_cbranch_scc1 .LBB2_83
	s_branch .LBB2_86
.LBB2_84:                               ;   in Loop: Header=BB2_64 Depth=4
	s_mov_b32 s21, 0
	s_branch .LBB2_87
.LBB2_85:                               ;   in Loop: Header=BB2_64 Depth=4
	v_mov_b32_e32 v13, 0
	v_mov_b32_e32 v14, 0
.LBB2_86:                               ;   in Loop: Header=BB2_64 Depth=4
	s_mov_b64 s[4:5], s[16:17]
	s_mov_b32 s21, 0
	s_cbranch_execnz .LBB2_88
.LBB2_87:                               ;   in Loop: Header=BB2_64 Depth=4
	global_load_dwordx2 v[13:14], v45, s[16:17]
	s_add_i32 s21, s20, -8
.LBB2_88:                               ;   in Loop: Header=BB2_64 Depth=4
	s_add_u32 s16, s4, 8
	s_addc_u32 s17, s5, 0
	s_cmp_gt_u32 s21, 7
	s_cbranch_scc1 .LBB2_92
; %bb.89:                               ;   in Loop: Header=BB2_64 Depth=4
	s_cmp_eq_u32 s21, 0
	s_cbranch_scc1 .LBB2_93
; %bb.90:                               ;   in Loop: Header=BB2_64 Depth=4
	v_mov_b32_e32 v15, 0
	s_mov_b64 s[16:17], 0
	v_mov_b32_e32 v16, 0
	s_mov_b64 s[18:19], 0
.LBB2_91:                               ;   Parent Loop BB2_13 Depth=1
                                        ;     Parent Loop BB2_20 Depth=2
                                        ;       Parent Loop BB2_34 Depth=3
                                        ;         Parent Loop BB2_64 Depth=4
                                        ; =>        This Inner Loop Header: Depth=5
	s_add_u32 s22, s4, s18
	s_addc_u32 s23, s5, s19
	global_load_ubyte v2, v45, s[22:23]
	s_add_u32 s18, s18, 1
	s_addc_u32 s19, s19, 0
	s_waitcnt vmcnt(0)
	v_and_b32_e32 v44, 0xffff, v2
	v_lshlrev_b64 v[2:3], s16, v[44:45]
	s_add_u32 s16, s16, 8
	s_addc_u32 s17, s17, 0
	v_or_b32_e32 v15, v2, v15
	s_cmp_lg_u32 s21, s18
	v_or_b32_e32 v16, v3, v16
	s_cbranch_scc1 .LBB2_91
	s_branch .LBB2_94
.LBB2_92:                               ;   in Loop: Header=BB2_64 Depth=4
                                        ; implicit-def: $vgpr15_vgpr16
	s_mov_b32 s20, 0
	s_branch .LBB2_95
.LBB2_93:                               ;   in Loop: Header=BB2_64 Depth=4
	v_mov_b32_e32 v15, 0
	v_mov_b32_e32 v16, 0
.LBB2_94:                               ;   in Loop: Header=BB2_64 Depth=4
	s_mov_b64 s[16:17], s[4:5]
	s_mov_b32 s20, 0
	s_cbranch_execnz .LBB2_96
.LBB2_95:                               ;   in Loop: Header=BB2_64 Depth=4
	global_load_dwordx2 v[15:16], v45, s[4:5]
	s_add_i32 s20, s21, -8
.LBB2_96:                               ;   in Loop: Header=BB2_64 Depth=4
	s_add_u32 s4, s16, 8
	s_addc_u32 s5, s17, 0
	s_cmp_gt_u32 s20, 7
	s_cbranch_scc1 .LBB2_100
; %bb.97:                               ;   in Loop: Header=BB2_64 Depth=4
	s_cmp_eq_u32 s20, 0
	s_cbranch_scc1 .LBB2_101
; %bb.98:                               ;   in Loop: Header=BB2_64 Depth=4
	v_mov_b32_e32 v17, 0
	s_mov_b64 s[4:5], 0
	v_mov_b32_e32 v18, 0
	s_mov_b64 s[18:19], 0
.LBB2_99:                               ;   Parent Loop BB2_13 Depth=1
                                        ;     Parent Loop BB2_20 Depth=2
                                        ;       Parent Loop BB2_34 Depth=3
                                        ;         Parent Loop BB2_64 Depth=4
                                        ; =>        This Inner Loop Header: Depth=5
	s_add_u32 s22, s16, s18
	s_addc_u32 s23, s17, s19
	global_load_ubyte v2, v45, s[22:23]
	s_add_u32 s18, s18, 1
	s_addc_u32 s19, s19, 0
	s_waitcnt vmcnt(0)
	v_and_b32_e32 v44, 0xffff, v2
	v_lshlrev_b64 v[2:3], s4, v[44:45]
	s_add_u32 s4, s4, 8
	s_addc_u32 s5, s5, 0
	v_or_b32_e32 v17, v2, v17
	s_cmp_lg_u32 s20, s18
	v_or_b32_e32 v18, v3, v18
	s_cbranch_scc1 .LBB2_99
	s_branch .LBB2_102
.LBB2_100:                              ;   in Loop: Header=BB2_64 Depth=4
	s_mov_b32 s21, 0
	s_branch .LBB2_103
.LBB2_101:                              ;   in Loop: Header=BB2_64 Depth=4
	v_mov_b32_e32 v17, 0
	v_mov_b32_e32 v18, 0
.LBB2_102:                              ;   in Loop: Header=BB2_64 Depth=4
	s_mov_b64 s[4:5], s[16:17]
	s_mov_b32 s21, 0
	s_cbranch_execnz .LBB2_104
.LBB2_103:                              ;   in Loop: Header=BB2_64 Depth=4
	global_load_dwordx2 v[17:18], v45, s[16:17]
	s_add_i32 s21, s20, -8
.LBB2_104:                              ;   in Loop: Header=BB2_64 Depth=4
	s_add_u32 s16, s4, 8
	s_addc_u32 s17, s5, 0
	s_cmp_gt_u32 s21, 7
	s_cbranch_scc1 .LBB2_108
; %bb.105:                              ;   in Loop: Header=BB2_64 Depth=4
	s_cmp_eq_u32 s21, 0
	s_cbranch_scc1 .LBB2_109
; %bb.106:                              ;   in Loop: Header=BB2_64 Depth=4
	v_mov_b32_e32 v19, 0
	s_mov_b64 s[16:17], 0
	v_mov_b32_e32 v20, 0
	s_mov_b64 s[18:19], 0
.LBB2_107:                              ;   Parent Loop BB2_13 Depth=1
                                        ;     Parent Loop BB2_20 Depth=2
                                        ;       Parent Loop BB2_34 Depth=3
                                        ;         Parent Loop BB2_64 Depth=4
                                        ; =>        This Inner Loop Header: Depth=5
	s_add_u32 s22, s4, s18
	s_addc_u32 s23, s5, s19
	global_load_ubyte v2, v45, s[22:23]
	s_add_u32 s18, s18, 1
	s_addc_u32 s19, s19, 0
	s_waitcnt vmcnt(0)
	v_and_b32_e32 v44, 0xffff, v2
	v_lshlrev_b64 v[2:3], s16, v[44:45]
	s_add_u32 s16, s16, 8
	s_addc_u32 s17, s17, 0
	v_or_b32_e32 v19, v2, v19
	s_cmp_lg_u32 s21, s18
	v_or_b32_e32 v20, v3, v20
	s_cbranch_scc1 .LBB2_107
	s_branch .LBB2_110
.LBB2_108:                              ;   in Loop: Header=BB2_64 Depth=4
                                        ; implicit-def: $vgpr19_vgpr20
	s_mov_b32 s20, 0
	s_branch .LBB2_111
.LBB2_109:                              ;   in Loop: Header=BB2_64 Depth=4
	v_mov_b32_e32 v19, 0
	v_mov_b32_e32 v20, 0
.LBB2_110:                              ;   in Loop: Header=BB2_64 Depth=4
	s_mov_b64 s[16:17], s[4:5]
	s_mov_b32 s20, 0
	s_cbranch_execnz .LBB2_112
.LBB2_111:                              ;   in Loop: Header=BB2_64 Depth=4
	global_load_dwordx2 v[19:20], v45, s[4:5]
	s_add_i32 s20, s21, -8
.LBB2_112:                              ;   in Loop: Header=BB2_64 Depth=4
	s_cmp_gt_u32 s20, 7
	s_cbranch_scc1 .LBB2_116
; %bb.113:                              ;   in Loop: Header=BB2_64 Depth=4
	s_cmp_eq_u32 s20, 0
	s_cbranch_scc1 .LBB2_117
; %bb.114:                              ;   in Loop: Header=BB2_64 Depth=4
	v_mov_b32_e32 v21, 0
	s_mov_b64 s[4:5], 0
	v_mov_b32_e32 v22, 0
	s_mov_b64 s[18:19], s[16:17]
.LBB2_115:                              ;   Parent Loop BB2_13 Depth=1
                                        ;     Parent Loop BB2_20 Depth=2
                                        ;       Parent Loop BB2_34 Depth=3
                                        ;         Parent Loop BB2_64 Depth=4
                                        ; =>        This Inner Loop Header: Depth=5
	global_load_ubyte v2, v45, s[18:19]
	s_add_i32 s20, s20, -1
	s_waitcnt vmcnt(0)
	v_and_b32_e32 v44, 0xffff, v2
	v_lshlrev_b64 v[2:3], s4, v[44:45]
	s_add_u32 s4, s4, 8
	s_addc_u32 s5, s5, 0
	s_add_u32 s18, s18, 1
	s_addc_u32 s19, s19, 0
	v_or_b32_e32 v21, v2, v21
	s_cmp_lg_u32 s20, 0
	v_or_b32_e32 v22, v3, v22
	s_cbranch_scc1 .LBB2_115
	s_branch .LBB2_118
.LBB2_116:                              ;   in Loop: Header=BB2_64 Depth=4
	s_branch .LBB2_119
.LBB2_117:                              ;   in Loop: Header=BB2_64 Depth=4
	v_mov_b32_e32 v21, 0
	v_mov_b32_e32 v22, 0
.LBB2_118:                              ;   in Loop: Header=BB2_64 Depth=4
	s_cbranch_execnz .LBB2_120
.LBB2_119:                              ;   in Loop: Header=BB2_64 Depth=4
	global_load_dwordx2 v[21:22], v45, s[16:17]
.LBB2_120:                              ;   in Loop: Header=BB2_64 Depth=4
	v_readfirstlane_b32 s4, v58
	v_mov_b32_e32 v2, 0
	v_mov_b32_e32 v3, 0
	v_cmp_eq_u32_e64 s[4:5], s4, v58
	s_and_saveexec_b64 s[16:17], s[4:5]
	s_cbranch_execz .LBB2_126
; %bb.121:                              ;   in Loop: Header=BB2_64 Depth=4
	global_load_dwordx2 v[25:26], v45, s[8:9] offset:24 glc
	s_waitcnt vmcnt(0)
	buffer_wbinvl1_vol
	global_load_dwordx2 v[2:3], v45, s[8:9] offset:40
	global_load_dwordx2 v[23:24], v45, s[8:9]
	s_waitcnt vmcnt(1)
	v_and_b32_e32 v2, v2, v25
	v_and_b32_e32 v3, v3, v26
	v_mul_lo_u32 v3, v3, 24
	v_mul_hi_u32 v29, v2, 24
	v_mul_lo_u32 v2, v2, 24
	v_add_u32_e32 v3, v29, v3
	s_waitcnt vmcnt(0)
	v_add_co_u32_e32 v2, vcc, v23, v2
	v_addc_co_u32_e32 v3, vcc, v24, v3, vcc
	global_load_dwordx2 v[23:24], v[2:3], off glc
	s_waitcnt vmcnt(0)
	global_atomic_cmpswap_x2 v[2:3], v45, v[23:26], s[8:9] offset:24 glc
	s_waitcnt vmcnt(0)
	buffer_wbinvl1_vol
	v_cmp_ne_u64_e32 vcc, v[2:3], v[25:26]
	s_and_saveexec_b64 s[18:19], vcc
	s_cbranch_execz .LBB2_125
; %bb.122:                              ;   in Loop: Header=BB2_64 Depth=4
	s_mov_b64 s[20:21], 0
.LBB2_123:                              ;   Parent Loop BB2_13 Depth=1
                                        ;     Parent Loop BB2_20 Depth=2
                                        ;       Parent Loop BB2_34 Depth=3
                                        ;         Parent Loop BB2_64 Depth=4
                                        ; =>        This Inner Loop Header: Depth=5
	s_sleep 1
	global_load_dwordx2 v[23:24], v45, s[8:9] offset:40
	global_load_dwordx2 v[29:30], v45, s[8:9]
	v_mov_b32_e32 v26, v3
	v_mov_b32_e32 v25, v2
	s_waitcnt vmcnt(1)
	v_and_b32_e32 v2, v23, v25
	s_waitcnt vmcnt(0)
	v_mad_u64_u32 v[2:3], s[22:23], v2, 24, v[29:30]
	v_and_b32_e32 v23, v24, v26
	v_mad_u64_u32 v[23:24], s[22:23], v23, 24, v[3:4]
	v_mov_b32_e32 v3, v23
	global_load_dwordx2 v[23:24], v[2:3], off glc
	s_waitcnt vmcnt(0)
	global_atomic_cmpswap_x2 v[2:3], v45, v[23:26], s[8:9] offset:24 glc
	s_waitcnt vmcnt(0)
	buffer_wbinvl1_vol
	v_cmp_eq_u64_e32 vcc, v[2:3], v[25:26]
	s_or_b64 s[20:21], vcc, s[20:21]
	s_andn2_b64 exec, exec, s[20:21]
	s_cbranch_execnz .LBB2_123
; %bb.124:                              ;   in Loop: Header=BB2_64 Depth=4
	s_or_b64 exec, exec, s[20:21]
.LBB2_125:                              ;   in Loop: Header=BB2_64 Depth=4
	s_or_b64 exec, exec, s[18:19]
.LBB2_126:                              ;   in Loop: Header=BB2_64 Depth=4
	s_or_b64 exec, exec, s[16:17]
	v_readfirstlane_b32 s17, v3
	v_readfirstlane_b32 s16, v2
	global_load_dwordx4 v[23:26], v45, s[8:9]
	global_load_dwordx2 v[2:3], v45, s[8:9] offset:40
	s_waitcnt vmcnt(0)
	v_readfirstlane_b32 s18, v2
	v_readfirstlane_b32 s19, v3
	s_and_b64 s[18:19], s[18:19], s[16:17]
	s_mul_i32 s20, s19, 24
	s_mul_hi_u32 s21, s18, 24
	s_add_i32 s20, s21, s20
	s_mul_i32 s21, s18, 24
	v_add_co_u32_e32 v2, vcc, s21, v23
	v_mov_b32_e32 v3, s20
	v_addc_co_u32_e32 v3, vcc, v24, v3, vcc
	s_mov_b64 s[20:21], exec
	s_and_saveexec_b64 s[22:23], s[4:5]
	s_cbranch_execz .LBB2_128
; %bb.127:                              ;   in Loop: Header=BB2_64 Depth=4
	v_mov_b32_e32 v52, s21
	v_mov_b32_e32 v51, s20
	global_store_dwordx4 v[2:3], v[51:54], off offset:8
.LBB2_128:                              ;   in Loop: Header=BB2_64 Depth=4
	s_or_b64 exec, exec, s[22:23]
	s_lshl_b64 s[18:19], s[18:19], 12
	v_add_co_u32_e32 v25, vcc, s18, v25
	v_mov_b32_e32 v29, s19
	v_cmp_gt_u64_e64 s[18:19], s[12:13], 56
	v_and_b32_e32 v7, 0xffffff1f, v7
	s_and_b64 s[18:19], s[18:19], exec
	s_cselect_b32 s18, 0, 2
	s_lshl_b32 s19, s14, 2
	s_add_i32 s19, s19, 28
	v_addc_co_u32_e32 v26, vcc, v26, v29, vcc
	s_and_b32 s19, s19, 0x1e0
	v_or_b32_e32 v7, s18, v7
	v_or_b32_e32 v7, s19, v7
	v_readfirstlane_b32 s18, v25
	v_readfirstlane_b32 s19, v26
	s_nop 4
	global_store_dwordx4 v28, v[7:10], s[18:19]
	global_store_dwordx4 v28, v[11:14], s[18:19] offset:16
	global_store_dwordx4 v28, v[15:18], s[18:19] offset:32
	;; [unrolled: 1-line block ×3, first 2 shown]
	s_and_saveexec_b64 s[18:19], s[4:5]
	s_cbranch_execz .LBB2_136
; %bb.129:                              ;   in Loop: Header=BB2_64 Depth=4
	global_load_dwordx2 v[15:16], v45, s[8:9] offset:32 glc
	global_load_dwordx2 v[7:8], v45, s[8:9] offset:40
	v_mov_b32_e32 v13, s16
	v_mov_b32_e32 v14, s17
	s_waitcnt vmcnt(0)
	v_readfirstlane_b32 s20, v7
	v_readfirstlane_b32 s21, v8
	s_and_b64 s[20:21], s[20:21], s[16:17]
	s_mul_i32 s21, s21, 24
	s_mul_hi_u32 s22, s20, 24
	s_mul_i32 s20, s20, 24
	s_add_i32 s21, s22, s21
	v_mov_b32_e32 v7, s21
	v_add_co_u32_e32 v11, vcc, s20, v23
	v_addc_co_u32_e32 v12, vcc, v24, v7, vcc
	global_store_dwordx2 v[11:12], v[15:16], off
	s_waitcnt vmcnt(0)
	global_atomic_cmpswap_x2 v[9:10], v45, v[13:16], s[8:9] offset:32 glc
	s_waitcnt vmcnt(0)
	v_cmp_ne_u64_e32 vcc, v[9:10], v[15:16]
	s_and_saveexec_b64 s[20:21], vcc
	s_cbranch_execz .LBB2_132
; %bb.130:                              ;   in Loop: Header=BB2_64 Depth=4
	s_mov_b64 s[22:23], 0
.LBB2_131:                              ;   Parent Loop BB2_13 Depth=1
                                        ;     Parent Loop BB2_20 Depth=2
                                        ;       Parent Loop BB2_34 Depth=3
                                        ;         Parent Loop BB2_64 Depth=4
                                        ; =>        This Inner Loop Header: Depth=5
	s_sleep 1
	global_store_dwordx2 v[11:12], v[9:10], off
	v_mov_b32_e32 v7, s16
	v_mov_b32_e32 v8, s17
	s_waitcnt vmcnt(0)
	global_atomic_cmpswap_x2 v[7:8], v45, v[7:10], s[8:9] offset:32 glc
	s_waitcnt vmcnt(0)
	v_cmp_eq_u64_e32 vcc, v[7:8], v[9:10]
	v_mov_b32_e32 v10, v8
	s_or_b64 s[22:23], vcc, s[22:23]
	v_mov_b32_e32 v9, v7
	s_andn2_b64 exec, exec, s[22:23]
	s_cbranch_execnz .LBB2_131
.LBB2_132:                              ;   in Loop: Header=BB2_64 Depth=4
	s_or_b64 exec, exec, s[20:21]
	global_load_dwordx2 v[7:8], v45, s[8:9] offset:16
	s_mov_b64 s[22:23], exec
	v_mbcnt_lo_u32_b32 v9, s22, 0
	v_mbcnt_hi_u32_b32 v9, s23, v9
	v_cmp_eq_u32_e32 vcc, 0, v9
	s_and_saveexec_b64 s[20:21], vcc
	s_cbranch_execz .LBB2_134
; %bb.133:                              ;   in Loop: Header=BB2_64 Depth=4
	s_bcnt1_i32_b64 s22, s[22:23]
	v_mov_b32_e32 v44, s22
	s_waitcnt vmcnt(0)
	global_atomic_add_x2 v[7:8], v[44:45], off offset:8
.LBB2_134:                              ;   in Loop: Header=BB2_64 Depth=4
	s_or_b64 exec, exec, s[20:21]
	s_waitcnt vmcnt(0)
	global_load_dwordx2 v[9:10], v[7:8], off offset:16
	s_waitcnt vmcnt(0)
	v_cmp_eq_u64_e32 vcc, 0, v[9:10]
	s_cbranch_vccnz .LBB2_136
; %bb.135:                              ;   in Loop: Header=BB2_64 Depth=4
	global_load_dword v44, v[7:8], off offset:24
	s_waitcnt vmcnt(0)
	v_readfirstlane_b32 s20, v44
	s_and_b32 m0, s20, 0xffffff
	global_store_dwordx2 v[9:10], v[44:45], off
	s_sendmsg sendmsg(MSG_INTERRUPT)
.LBB2_136:                              ;   in Loop: Header=BB2_64 Depth=4
	s_or_b64 exec, exec, s[18:19]
	v_add_co_u32_e32 v7, vcc, v25, v28
	v_addc_co_u32_e32 v8, vcc, 0, v26, vcc
	s_branch .LBB2_140
.LBB2_137:                              ;   in Loop: Header=BB2_140 Depth=5
	s_or_b64 exec, exec, s[18:19]
	v_readfirstlane_b32 s18, v9
	s_cmp_eq_u32 s18, 0
	s_cbranch_scc1 .LBB2_139
; %bb.138:                              ;   in Loop: Header=BB2_140 Depth=5
	s_sleep 1
	s_cbranch_execnz .LBB2_140
	s_branch .LBB2_142
.LBB2_139:                              ;   in Loop: Header=BB2_64 Depth=4
	s_branch .LBB2_142
.LBB2_140:                              ;   Parent Loop BB2_13 Depth=1
                                        ;     Parent Loop BB2_20 Depth=2
                                        ;       Parent Loop BB2_34 Depth=3
                                        ;         Parent Loop BB2_64 Depth=4
                                        ; =>        This Inner Loop Header: Depth=5
	v_mov_b32_e32 v9, 1
	s_and_saveexec_b64 s[18:19], s[4:5]
	s_cbranch_execz .LBB2_137
; %bb.141:                              ;   in Loop: Header=BB2_140 Depth=5
	global_load_dword v9, v[2:3], off offset:20 glc
	s_waitcnt vmcnt(0)
	buffer_wbinvl1_vol
	v_and_b32_e32 v9, 1, v9
	s_branch .LBB2_137
.LBB2_142:                              ;   in Loop: Header=BB2_64 Depth=4
	global_load_dwordx4 v[7:10], v[7:8], off
	s_and_saveexec_b64 s[18:19], s[4:5]
	s_cbranch_execz .LBB2_63
; %bb.143:                              ;   in Loop: Header=BB2_64 Depth=4
	global_load_dwordx2 v[2:3], v45, s[8:9] offset:40
	global_load_dwordx2 v[13:14], v45, s[8:9] offset:24 glc
	global_load_dwordx2 v[9:10], v45, s[8:9]
	s_waitcnt vmcnt(2)
	v_readfirstlane_b32 s20, v2
	v_readfirstlane_b32 s21, v3
	s_add_u32 s22, s20, 1
	s_addc_u32 s23, s21, 0
	s_add_u32 s4, s22, s16
	s_addc_u32 s5, s23, s17
	s_cmp_eq_u64 s[4:5], 0
	s_cselect_b32 s5, s23, s5
	s_cselect_b32 s4, s22, s4
	s_and_b64 s[16:17], s[4:5], s[20:21]
	s_mul_i32 s17, s17, 24
	s_mul_hi_u32 s20, s16, 24
	s_mul_i32 s16, s16, 24
	s_add_i32 s17, s20, s17
	v_mov_b32_e32 v3, s17
	s_waitcnt vmcnt(0)
	v_add_co_u32_e32 v2, vcc, s16, v9
	v_addc_co_u32_e32 v3, vcc, v10, v3, vcc
	v_mov_b32_e32 v11, s4
	global_store_dwordx2 v[2:3], v[13:14], off
	v_mov_b32_e32 v12, s5
	s_waitcnt vmcnt(0)
	global_atomic_cmpswap_x2 v[11:12], v45, v[11:14], s[8:9] offset:24 glc
	s_waitcnt vmcnt(0)
	v_cmp_ne_u64_e32 vcc, v[11:12], v[13:14]
	s_and_b64 exec, exec, vcc
	s_cbranch_execz .LBB2_63
; %bb.144:                              ;   in Loop: Header=BB2_64 Depth=4
	s_mov_b64 s[16:17], 0
.LBB2_145:                              ;   Parent Loop BB2_13 Depth=1
                                        ;     Parent Loop BB2_20 Depth=2
                                        ;       Parent Loop BB2_34 Depth=3
                                        ;         Parent Loop BB2_64 Depth=4
                                        ; =>        This Inner Loop Header: Depth=5
	s_sleep 1
	global_store_dwordx2 v[2:3], v[11:12], off
	v_mov_b32_e32 v9, s4
	v_mov_b32_e32 v10, s5
	s_waitcnt vmcnt(0)
	global_atomic_cmpswap_x2 v[9:10], v45, v[9:12], s[8:9] offset:24 glc
	s_waitcnt vmcnt(0)
	v_cmp_eq_u64_e32 vcc, v[9:10], v[11:12]
	v_mov_b32_e32 v12, v10
	s_or_b64 s[16:17], vcc, s[16:17]
	v_mov_b32_e32 v11, v9
	s_andn2_b64 exec, exec, s[16:17]
	s_cbranch_execnz .LBB2_145
	s_branch .LBB2_63
.LBB2_146:                              ;   in Loop: Header=BB2_34 Depth=3
	s_branch .LBB2_174
.LBB2_147:                              ;   in Loop: Header=BB2_34 Depth=3
	s_cbranch_execz .LBB2_174
; %bb.148:                              ;   in Loop: Header=BB2_34 Depth=3
	v_readfirstlane_b32 s4, v58
	v_mov_b32_e32 v2, 0
	v_mov_b32_e32 v3, 0
	v_cmp_eq_u32_e64 s[4:5], s4, v58
	s_and_saveexec_b64 s[10:11], s[4:5]
	s_cbranch_execz .LBB2_154
; %bb.149:                              ;   in Loop: Header=BB2_34 Depth=3
	global_load_dwordx2 v[9:10], v45, s[8:9] offset:24 glc
	s_waitcnt vmcnt(0)
	buffer_wbinvl1_vol
	global_load_dwordx2 v[2:3], v45, s[8:9] offset:40
	global_load_dwordx2 v[7:8], v45, s[8:9]
	s_waitcnt vmcnt(1)
	v_and_b32_e32 v2, v2, v9
	v_and_b32_e32 v3, v3, v10
	v_mul_lo_u32 v3, v3, 24
	v_mul_hi_u32 v11, v2, 24
	v_mul_lo_u32 v2, v2, 24
	v_add_u32_e32 v3, v11, v3
	s_waitcnt vmcnt(0)
	v_add_co_u32_e32 v2, vcc, v7, v2
	v_addc_co_u32_e32 v3, vcc, v8, v3, vcc
	global_load_dwordx2 v[7:8], v[2:3], off glc
	s_waitcnt vmcnt(0)
	global_atomic_cmpswap_x2 v[2:3], v45, v[7:10], s[8:9] offset:24 glc
	s_waitcnt vmcnt(0)
	buffer_wbinvl1_vol
	v_cmp_ne_u64_e32 vcc, v[2:3], v[9:10]
	s_and_saveexec_b64 s[12:13], vcc
	s_cbranch_execz .LBB2_153
; %bb.150:                              ;   in Loop: Header=BB2_34 Depth=3
	s_mov_b64 s[14:15], 0
.LBB2_151:                              ;   Parent Loop BB2_13 Depth=1
                                        ;     Parent Loop BB2_20 Depth=2
                                        ;       Parent Loop BB2_34 Depth=3
                                        ; =>      This Inner Loop Header: Depth=4
	s_sleep 1
	global_load_dwordx2 v[7:8], v45, s[8:9] offset:40
	global_load_dwordx2 v[11:12], v45, s[8:9]
	v_mov_b32_e32 v10, v3
	v_mov_b32_e32 v9, v2
	s_waitcnt vmcnt(1)
	v_and_b32_e32 v2, v7, v9
	s_waitcnt vmcnt(0)
	v_mad_u64_u32 v[2:3], s[16:17], v2, 24, v[11:12]
	v_and_b32_e32 v7, v8, v10
	v_mad_u64_u32 v[7:8], s[16:17], v7, 24, v[3:4]
	v_mov_b32_e32 v3, v7
	global_load_dwordx2 v[7:8], v[2:3], off glc
	s_waitcnt vmcnt(0)
	global_atomic_cmpswap_x2 v[2:3], v45, v[7:10], s[8:9] offset:24 glc
	s_waitcnt vmcnt(0)
	buffer_wbinvl1_vol
	v_cmp_eq_u64_e32 vcc, v[2:3], v[9:10]
	s_or_b64 s[14:15], vcc, s[14:15]
	s_andn2_b64 exec, exec, s[14:15]
	s_cbranch_execnz .LBB2_151
; %bb.152:                              ;   in Loop: Header=BB2_34 Depth=3
	s_or_b64 exec, exec, s[14:15]
.LBB2_153:                              ;   in Loop: Header=BB2_34 Depth=3
	s_or_b64 exec, exec, s[12:13]
.LBB2_154:                              ;   in Loop: Header=BB2_34 Depth=3
	s_or_b64 exec, exec, s[10:11]
	v_readfirstlane_b32 s11, v3
	v_readfirstlane_b32 s10, v2
	global_load_dwordx4 v[9:12], v45, s[8:9]
	global_load_dwordx2 v[2:3], v45, s[8:9] offset:40
	s_waitcnt vmcnt(0)
	v_readfirstlane_b32 s12, v2
	v_readfirstlane_b32 s13, v3
	s_and_b64 s[12:13], s[12:13], s[10:11]
	s_mul_i32 s14, s13, 24
	s_mul_hi_u32 s15, s12, 24
	s_add_i32 s14, s15, s14
	s_mul_i32 s15, s12, 24
	v_add_co_u32_e32 v2, vcc, s15, v9
	v_mov_b32_e32 v3, s14
	v_addc_co_u32_e32 v3, vcc, v10, v3, vcc
	s_mov_b64 s[14:15], exec
	s_and_saveexec_b64 s[16:17], s[4:5]
	s_cbranch_execz .LBB2_156
; %bb.155:                              ;   in Loop: Header=BB2_34 Depth=3
	v_mov_b32_e32 v52, s15
	v_mov_b32_e32 v51, s14
	global_store_dwordx4 v[2:3], v[51:54], off offset:8
.LBB2_156:                              ;   in Loop: Header=BB2_34 Depth=3
	s_or_b64 exec, exec, s[16:17]
	s_lshl_b64 s[12:13], s[12:13], 12
	v_mov_b32_e32 v7, s13
	v_add_co_u32_e32 v11, vcc, s12, v11
	v_addc_co_u32_e32 v12, vcc, v12, v7, vcc
	v_and_or_b32 v5, v5, s88, 34
	v_mov_b32_e32 v7, v45
	v_mov_b32_e32 v8, v45
	v_readfirstlane_b32 s12, v11
	v_readfirstlane_b32 s13, v12
	s_mov_b32 s53, s52
	s_mov_b32 s54, s52
	;; [unrolled: 1-line block ×3, first 2 shown]
	s_nop 1
	global_store_dwordx4 v28, v[5:8], s[12:13]
	s_nop 0
	v_mov_b32_e32 v5, s52
	v_mov_b32_e32 v6, s53
	;; [unrolled: 1-line block ×4, first 2 shown]
	global_store_dwordx4 v28, v[5:8], s[12:13] offset:16
	global_store_dwordx4 v28, v[5:8], s[12:13] offset:32
	;; [unrolled: 1-line block ×3, first 2 shown]
	s_and_saveexec_b64 s[12:13], s[4:5]
	s_cbranch_execz .LBB2_164
; %bb.157:                              ;   in Loop: Header=BB2_34 Depth=3
	global_load_dwordx2 v[13:14], v45, s[8:9] offset:32 glc
	global_load_dwordx2 v[5:6], v45, s[8:9] offset:40
	v_mov_b32_e32 v11, s10
	v_mov_b32_e32 v12, s11
	s_waitcnt vmcnt(0)
	v_readfirstlane_b32 s14, v5
	v_readfirstlane_b32 s15, v6
	s_and_b64 s[14:15], s[14:15], s[10:11]
	s_mul_i32 s15, s15, 24
	s_mul_hi_u32 s16, s14, 24
	s_mul_i32 s14, s14, 24
	s_add_i32 s15, s16, s15
	v_mov_b32_e32 v5, s15
	v_add_co_u32_e32 v9, vcc, s14, v9
	v_addc_co_u32_e32 v10, vcc, v10, v5, vcc
	global_store_dwordx2 v[9:10], v[13:14], off
	s_waitcnt vmcnt(0)
	global_atomic_cmpswap_x2 v[7:8], v45, v[11:14], s[8:9] offset:32 glc
	s_waitcnt vmcnt(0)
	v_cmp_ne_u64_e32 vcc, v[7:8], v[13:14]
	s_and_saveexec_b64 s[14:15], vcc
	s_cbranch_execz .LBB2_160
; %bb.158:                              ;   in Loop: Header=BB2_34 Depth=3
	s_mov_b64 s[16:17], 0
.LBB2_159:                              ;   Parent Loop BB2_13 Depth=1
                                        ;     Parent Loop BB2_20 Depth=2
                                        ;       Parent Loop BB2_34 Depth=3
                                        ; =>      This Inner Loop Header: Depth=4
	s_sleep 1
	global_store_dwordx2 v[9:10], v[7:8], off
	v_mov_b32_e32 v5, s10
	v_mov_b32_e32 v6, s11
	s_waitcnt vmcnt(0)
	global_atomic_cmpswap_x2 v[5:6], v45, v[5:8], s[8:9] offset:32 glc
	s_waitcnt vmcnt(0)
	v_cmp_eq_u64_e32 vcc, v[5:6], v[7:8]
	v_mov_b32_e32 v8, v6
	s_or_b64 s[16:17], vcc, s[16:17]
	v_mov_b32_e32 v7, v5
	s_andn2_b64 exec, exec, s[16:17]
	s_cbranch_execnz .LBB2_159
.LBB2_160:                              ;   in Loop: Header=BB2_34 Depth=3
	s_or_b64 exec, exec, s[14:15]
	global_load_dwordx2 v[5:6], v45, s[8:9] offset:16
	s_mov_b64 s[16:17], exec
	v_mbcnt_lo_u32_b32 v7, s16, 0
	v_mbcnt_hi_u32_b32 v7, s17, v7
	v_cmp_eq_u32_e32 vcc, 0, v7
	s_and_saveexec_b64 s[14:15], vcc
	s_cbranch_execz .LBB2_162
; %bb.161:                              ;   in Loop: Header=BB2_34 Depth=3
	s_bcnt1_i32_b64 s16, s[16:17]
	v_mov_b32_e32 v44, s16
	s_waitcnt vmcnt(0)
	global_atomic_add_x2 v[5:6], v[44:45], off offset:8
.LBB2_162:                              ;   in Loop: Header=BB2_34 Depth=3
	s_or_b64 exec, exec, s[14:15]
	s_waitcnt vmcnt(0)
	global_load_dwordx2 v[7:8], v[5:6], off offset:16
	s_waitcnt vmcnt(0)
	v_cmp_eq_u64_e32 vcc, 0, v[7:8]
	s_cbranch_vccnz .LBB2_164
; %bb.163:                              ;   in Loop: Header=BB2_34 Depth=3
	global_load_dword v44, v[5:6], off offset:24
	s_waitcnt vmcnt(0)
	v_readfirstlane_b32 s14, v44
	s_and_b32 m0, s14, 0xffffff
	global_store_dwordx2 v[7:8], v[44:45], off
	s_sendmsg sendmsg(MSG_INTERRUPT)
.LBB2_164:                              ;   in Loop: Header=BB2_34 Depth=3
	s_or_b64 exec, exec, s[12:13]
	s_branch .LBB2_168
.LBB2_165:                              ;   in Loop: Header=BB2_168 Depth=4
	s_or_b64 exec, exec, s[12:13]
	v_readfirstlane_b32 s12, v5
	s_cmp_eq_u32 s12, 0
	s_cbranch_scc1 .LBB2_167
; %bb.166:                              ;   in Loop: Header=BB2_168 Depth=4
	s_sleep 1
	s_cbranch_execnz .LBB2_168
	s_branch .LBB2_170
.LBB2_167:                              ;   in Loop: Header=BB2_34 Depth=3
	s_branch .LBB2_170
.LBB2_168:                              ;   Parent Loop BB2_13 Depth=1
                                        ;     Parent Loop BB2_20 Depth=2
                                        ;       Parent Loop BB2_34 Depth=3
                                        ; =>      This Inner Loop Header: Depth=4
	v_mov_b32_e32 v5, 1
	s_and_saveexec_b64 s[12:13], s[4:5]
	s_cbranch_execz .LBB2_165
; %bb.169:                              ;   in Loop: Header=BB2_168 Depth=4
	global_load_dword v5, v[2:3], off offset:20 glc
	s_waitcnt vmcnt(0)
	buffer_wbinvl1_vol
	v_and_b32_e32 v5, 1, v5
	s_branch .LBB2_165
.LBB2_170:                              ;   in Loop: Header=BB2_34 Depth=3
	s_and_b64 exec, exec, s[4:5]
	s_cbranch_execz .LBB2_174
; %bb.171:                              ;   in Loop: Header=BB2_34 Depth=3
	global_load_dwordx2 v[2:3], v45, s[8:9] offset:40
	global_load_dwordx2 v[9:10], v45, s[8:9] offset:24 glc
	global_load_dwordx2 v[5:6], v45, s[8:9]
	s_waitcnt vmcnt(2)
	v_readfirstlane_b32 s12, v2
	v_readfirstlane_b32 s13, v3
	s_add_u32 s14, s12, 1
	s_addc_u32 s15, s13, 0
	s_add_u32 s4, s14, s10
	s_addc_u32 s5, s15, s11
	s_cmp_eq_u64 s[4:5], 0
	s_cselect_b32 s5, s15, s5
	s_cselect_b32 s4, s14, s4
	s_and_b64 s[10:11], s[4:5], s[12:13]
	s_mul_i32 s11, s11, 24
	s_mul_hi_u32 s12, s10, 24
	s_mul_i32 s10, s10, 24
	s_add_i32 s11, s12, s11
	v_mov_b32_e32 v3, s11
	s_waitcnt vmcnt(0)
	v_add_co_u32_e32 v2, vcc, s10, v5
	v_addc_co_u32_e32 v3, vcc, v6, v3, vcc
	v_mov_b32_e32 v7, s4
	global_store_dwordx2 v[2:3], v[9:10], off
	v_mov_b32_e32 v8, s5
	s_waitcnt vmcnt(0)
	global_atomic_cmpswap_x2 v[7:8], v45, v[7:10], s[8:9] offset:24 glc
	s_waitcnt vmcnt(0)
	v_cmp_ne_u64_e32 vcc, v[7:8], v[9:10]
	s_and_b64 exec, exec, vcc
	s_cbranch_execz .LBB2_174
; %bb.172:                              ;   in Loop: Header=BB2_34 Depth=3
	s_mov_b64 s[10:11], 0
.LBB2_173:                              ;   Parent Loop BB2_13 Depth=1
                                        ;     Parent Loop BB2_20 Depth=2
                                        ;       Parent Loop BB2_34 Depth=3
                                        ; =>      This Inner Loop Header: Depth=4
	s_sleep 1
	global_store_dwordx2 v[2:3], v[7:8], off
	v_mov_b32_e32 v5, s4
	v_mov_b32_e32 v6, s5
	s_waitcnt vmcnt(0)
	global_atomic_cmpswap_x2 v[5:6], v45, v[5:8], s[8:9] offset:24 glc
	s_waitcnt vmcnt(0)
	v_cmp_eq_u64_e32 vcc, v[5:6], v[7:8]
	v_mov_b32_e32 v8, v6
	s_or_b64 s[10:11], vcc, s[10:11]
	v_mov_b32_e32 v7, v5
	s_andn2_b64 exec, exec, s[10:11]
	s_cbranch_execnz .LBB2_173
.LBB2_174:                              ;   in Loop: Header=BB2_34 Depth=3
	s_or_b64 exec, exec, s[6:7]
	v_add_co_u32_e32 v2, vcc, v55, v27
	v_addc_co_u32_e32 v3, vcc, 0, v56, vcc
	global_load_ubyte v5, v[2:3], off
	s_waitcnt vmcnt(0)
	v_cmp_ne_u16_e32 vcc, s89, v5
	s_and_saveexec_b64 s[4:5], vcc
	s_cbranch_execz .LBB2_33
; %bb.175:                              ;   in Loop: Header=BB2_34 Depth=3
	v_add_co_u32_e32 v2, vcc, v59, v27
	v_addc_co_u32_e32 v3, vcc, 0, v57, vcc
	global_load_sbyte v2, v[2:3], off
	s_waitcnt vmcnt(0)
	v_subrev_u32_e32 v6, s33, v2
	v_cmp_lt_i32_e32 vcc, 9, v6
	s_and_saveexec_b64 s[6:7], vcc
	s_cbranch_execz .LBB2_180
; %bb.176:                              ;   in Loop: Header=BB2_34 Depth=3
	v_cmp_lt_i16_e32 vcc, s90, v5
	s_mov_b64 s[8:9], 0
                                        ; implicit-def: $vgpr2_vgpr3
	s_and_saveexec_b64 s[10:11], vcc
	s_xor_b64 s[10:11], exec, s[10:11]
	s_cbranch_execnz .LBB2_184
; %bb.177:                              ;   in Loop: Header=BB2_34 Depth=3
	s_andn2_saveexec_b64 s[10:11], s[10:11]
	s_cbranch_execnz .LBB2_193
.LBB2_178:                              ;   in Loop: Header=BB2_34 Depth=3
	s_or_b64 exec, exec, s[10:11]
	s_and_b64 exec, exec, s[8:9]
	s_cbranch_execz .LBB2_180
.LBB2_179:                              ;   in Loop: Header=BB2_34 Depth=3
	flat_atomic_add v[2:3], v54
.LBB2_180:                              ;   in Loop: Header=BB2_34 Depth=3
	s_or_b64 exec, exec, s[6:7]
	v_cmp_lt_i32_e32 vcc, 19, v6
	s_and_b64 exec, exec, vcc
	s_cbranch_execz .LBB2_33
; %bb.181:                              ;   in Loop: Header=BB2_34 Depth=3
	v_cmp_lt_i16_e32 vcc, s90, v5
	s_mov_b64 s[6:7], 0
                                        ; implicit-def: $vgpr2_vgpr3
	s_and_saveexec_b64 s[8:9], vcc
	s_xor_b64 s[8:9], exec, s[8:9]
	s_cbranch_execnz .LBB2_200
; %bb.182:                              ;   in Loop: Header=BB2_34 Depth=3
	s_andn2_saveexec_b64 s[8:9], s[8:9]
	s_cbranch_execnz .LBB2_209
.LBB2_183:                              ;   in Loop: Header=BB2_34 Depth=3
	s_or_b64 exec, exec, s[8:9]
	s_and_b64 exec, exec, s[6:7]
	s_cbranch_execz .LBB2_33
	s_branch .LBB2_216
.LBB2_184:                              ;   in Loop: Header=BB2_34 Depth=3
	v_cmp_lt_i16_e32 vcc, s91, v5
                                        ; implicit-def: $vgpr2_vgpr3
	s_and_saveexec_b64 s[12:13], vcc
	s_xor_b64 s[12:13], exec, s[12:13]
	s_cbranch_execz .LBB2_188
; %bb.185:                              ;   in Loop: Header=BB2_34 Depth=3
	v_cmp_eq_u16_e32 vcc, s92, v5
                                        ; implicit-def: $vgpr2_vgpr3
	s_and_saveexec_b64 s[14:15], vcc
; %bb.186:                              ;   in Loop: Header=BB2_34 Depth=3
	v_add_co_u32_e32 v2, vcc, 44, v0
	s_mov_b64 s[8:9], exec
	v_addc_co_u32_e32 v3, vcc, 0, v1, vcc
; %bb.187:                              ;   in Loop: Header=BB2_34 Depth=3
	s_or_b64 exec, exec, s[14:15]
	s_and_b64 s[8:9], s[8:9], exec
.LBB2_188:                              ;   in Loop: Header=BB2_34 Depth=3
	s_andn2_saveexec_b64 s[12:13], s[12:13]
	s_cbranch_execz .LBB2_192
; %bb.189:                              ;   in Loop: Header=BB2_34 Depth=3
	v_cmp_eq_u16_e32 vcc, s93, v5
	s_mov_b64 s[14:15], s[8:9]
                                        ; implicit-def: $vgpr2_vgpr3
	s_and_saveexec_b64 s[16:17], vcc
; %bb.190:                              ;   in Loop: Header=BB2_34 Depth=3
	v_add_co_u32_e32 v2, vcc, 40, v0
	v_addc_co_u32_e32 v3, vcc, 0, v1, vcc
	s_or_b64 s[14:15], s[8:9], exec
; %bb.191:                              ;   in Loop: Header=BB2_34 Depth=3
	s_or_b64 exec, exec, s[16:17]
	s_andn2_b64 s[8:9], s[8:9], exec
	s_and_b64 s[14:15], s[14:15], exec
	s_or_b64 s[8:9], s[8:9], s[14:15]
.LBB2_192:                              ;   in Loop: Header=BB2_34 Depth=3
	s_or_b64 exec, exec, s[12:13]
	s_and_b64 s[8:9], s[8:9], exec
	s_andn2_saveexec_b64 s[10:11], s[10:11]
	s_cbranch_execz .LBB2_178
.LBB2_193:                              ;   in Loop: Header=BB2_34 Depth=3
	v_cmp_lt_i16_e32 vcc, s94, v5
	s_mov_b64 s[12:13], s[8:9]
                                        ; implicit-def: $vgpr2_vgpr3
	s_and_saveexec_b64 s[14:15], vcc
	s_xor_b64 s[14:15], exec, s[14:15]
	s_cbranch_execz .LBB2_197
; %bb.194:                              ;   in Loop: Header=BB2_34 Depth=3
	v_cmp_eq_u16_e32 vcc, s95, v5
	s_mov_b64 s[12:13], s[8:9]
                                        ; implicit-def: $vgpr2_vgpr3
	s_and_saveexec_b64 s[16:17], vcc
; %bb.195:                              ;   in Loop: Header=BB2_34 Depth=3
	v_add_co_u32_e32 v2, vcc, 36, v0
	v_addc_co_u32_e32 v3, vcc, 0, v1, vcc
	s_or_b64 s[12:13], s[8:9], exec
; %bb.196:                              ;   in Loop: Header=BB2_34 Depth=3
	s_or_b64 exec, exec, s[16:17]
	s_andn2_b64 s[16:17], s[8:9], exec
	s_and_b64 s[12:13], s[12:13], exec
	s_or_b64 s[12:13], s[16:17], s[12:13]
.LBB2_197:                              ;   in Loop: Header=BB2_34 Depth=3
	s_andn2_saveexec_b64 s[14:15], s[14:15]
; %bb.198:                              ;   in Loop: Header=BB2_34 Depth=3
	v_add_co_u32_e32 v2, vcc, 32, v0
	v_addc_co_u32_e32 v3, vcc, 0, v1, vcc
	v_cmp_eq_u16_e32 vcc, s96, v5
	s_andn2_b64 s[12:13], s[12:13], exec
	s_and_b64 s[16:17], vcc, exec
	s_or_b64 s[12:13], s[12:13], s[16:17]
; %bb.199:                              ;   in Loop: Header=BB2_34 Depth=3
	s_or_b64 exec, exec, s[14:15]
	s_andn2_b64 s[8:9], s[8:9], exec
	s_and_b64 s[12:13], s[12:13], exec
	s_or_b64 s[8:9], s[8:9], s[12:13]
	s_or_b64 exec, exec, s[10:11]
	s_and_b64 exec, exec, s[8:9]
	s_cbranch_execnz .LBB2_179
	s_branch .LBB2_180
.LBB2_200:                              ;   in Loop: Header=BB2_34 Depth=3
	v_cmp_lt_i16_e32 vcc, s91, v5
                                        ; implicit-def: $vgpr2_vgpr3
	s_and_saveexec_b64 s[10:11], vcc
	s_xor_b64 s[10:11], exec, s[10:11]
	s_cbranch_execz .LBB2_204
; %bb.201:                              ;   in Loop: Header=BB2_34 Depth=3
	v_cmp_eq_u16_e32 vcc, s92, v5
                                        ; implicit-def: $vgpr2_vgpr3
	s_and_saveexec_b64 s[12:13], vcc
; %bb.202:                              ;   in Loop: Header=BB2_34 Depth=3
	v_add_co_u32_e32 v2, vcc, 28, v0
	s_mov_b64 s[6:7], exec
	v_addc_co_u32_e32 v3, vcc, 0, v1, vcc
; %bb.203:                              ;   in Loop: Header=BB2_34 Depth=3
	s_or_b64 exec, exec, s[12:13]
	s_and_b64 s[6:7], s[6:7], exec
                                        ; implicit-def: $vgpr5
                                        ; implicit-def: $vgpr0
                                        ; implicit-def: $vgpr1
.LBB2_204:                              ;   in Loop: Header=BB2_34 Depth=3
	s_andn2_saveexec_b64 s[10:11], s[10:11]
	s_cbranch_execz .LBB2_208
; %bb.205:                              ;   in Loop: Header=BB2_34 Depth=3
	v_cmp_eq_u16_e32 vcc, s93, v5
	s_mov_b64 s[12:13], s[6:7]
                                        ; implicit-def: $vgpr2_vgpr3
	s_and_saveexec_b64 s[14:15], vcc
; %bb.206:                              ;   in Loop: Header=BB2_34 Depth=3
	v_add_co_u32_e32 v2, vcc, 24, v0
	v_addc_co_u32_e32 v3, vcc, 0, v1, vcc
	s_or_b64 s[12:13], s[6:7], exec
; %bb.207:                              ;   in Loop: Header=BB2_34 Depth=3
	s_or_b64 exec, exec, s[14:15]
	s_andn2_b64 s[6:7], s[6:7], exec
	s_and_b64 s[12:13], s[12:13], exec
	s_or_b64 s[6:7], s[6:7], s[12:13]
.LBB2_208:                              ;   in Loop: Header=BB2_34 Depth=3
	s_or_b64 exec, exec, s[10:11]
	s_and_b64 s[6:7], s[6:7], exec
                                        ; implicit-def: $vgpr0
                                        ; implicit-def: $vgpr1
                                        ; implicit-def: $vgpr5
	s_andn2_saveexec_b64 s[8:9], s[8:9]
	s_cbranch_execz .LBB2_183
.LBB2_209:                              ;   in Loop: Header=BB2_34 Depth=3
	v_cmp_lt_i16_e32 vcc, s94, v5
	s_mov_b64 s[10:11], s[6:7]
                                        ; implicit-def: $vgpr2_vgpr3
	s_and_saveexec_b64 s[12:13], vcc
	s_xor_b64 s[12:13], exec, s[12:13]
	s_cbranch_execz .LBB2_213
; %bb.210:                              ;   in Loop: Header=BB2_34 Depth=3
	v_cmp_eq_u16_e32 vcc, s95, v5
	s_mov_b64 s[10:11], s[6:7]
                                        ; implicit-def: $vgpr2_vgpr3
	s_and_saveexec_b64 s[14:15], vcc
; %bb.211:                              ;   in Loop: Header=BB2_34 Depth=3
	v_add_co_u32_e32 v2, vcc, 20, v0
	v_addc_co_u32_e32 v3, vcc, 0, v1, vcc
	s_or_b64 s[10:11], s[6:7], exec
; %bb.212:                              ;   in Loop: Header=BB2_34 Depth=3
	s_or_b64 exec, exec, s[14:15]
	s_andn2_b64 s[14:15], s[6:7], exec
	s_and_b64 s[10:11], s[10:11], exec
	s_or_b64 s[10:11], s[14:15], s[10:11]
                                        ; implicit-def: $vgpr0
                                        ; implicit-def: $vgpr1
                                        ; implicit-def: $vgpr5
.LBB2_213:                              ;   in Loop: Header=BB2_34 Depth=3
	s_andn2_saveexec_b64 s[12:13], s[12:13]
; %bb.214:                              ;   in Loop: Header=BB2_34 Depth=3
	v_add_co_u32_e32 v2, vcc, 16, v0
	v_addc_co_u32_e32 v3, vcc, 0, v1, vcc
	v_cmp_eq_u16_e32 vcc, s96, v5
	s_andn2_b64 s[10:11], s[10:11], exec
	s_and_b64 s[14:15], vcc, exec
	s_or_b64 s[10:11], s[10:11], s[14:15]
; %bb.215:                              ;   in Loop: Header=BB2_34 Depth=3
	s_or_b64 exec, exec, s[12:13]
	s_andn2_b64 s[6:7], s[6:7], exec
	s_and_b64 s[10:11], s[10:11], exec
	s_or_b64 s[6:7], s[6:7], s[10:11]
	s_or_b64 exec, exec, s[8:9]
	s_and_b64 exec, exec, s[6:7]
	s_cbranch_execz .LBB2_33
.LBB2_216:                              ;   in Loop: Header=BB2_34 Depth=3
	flat_atomic_add v[2:3], v54
	s_branch .LBB2_33
.LBB2_217:                              ;   in Loop: Header=BB2_13 Depth=1
	s_or_b64 exec, exec, s[76:77]
; %bb.218:                              ;   in Loop: Header=BB2_13 Depth=1
	s_and_saveexec_b64 s[10:11], s[38:39]
	s_cbranch_execz .LBB2_572
; %bb.219:                              ;   in Loop: Header=BB2_13 Depth=1
	buffer_load_dword v0, off, s[0:3], 0 offset:72 ; 4-byte Folded Reload
	buffer_load_dword v1, off, s[0:3], 0 offset:76 ; 4-byte Folded Reload
	s_mov_b64 s[12:13], 0
	s_waitcnt vmcnt(0)
	v_mov_b32_e32 v27, v0
	s_branch .LBB2_221
.LBB2_220:                              ;   in Loop: Header=BB2_221 Depth=2
	s_or_b64 exec, exec, s[14:15]
	v_add_u32_e32 v27, 64, v27
	v_cmp_ge_u32_e32 vcc, v27, v42
	s_or_b64 s[12:13], vcc, s[12:13]
	s_andn2_b64 exec, exec, s[12:13]
	s_cbranch_execz .LBB2_572
.LBB2_221:                              ;   Parent Loop BB2_13 Depth=1
                                        ; =>  This Loop Header: Depth=2
                                        ;       Child Loop BB2_330 Depth 3
                                        ;       Child Loop BB2_338 Depth 3
	;; [unrolled: 1-line block ×9, first 2 shown]
                                        ;         Child Loop BB2_431 Depth 4
                                        ;         Child Loop BB2_439 Depth 4
	;; [unrolled: 1-line block ×11, first 2 shown]
	v_mad_u64_u32 v[25:26], s[4:5], v27, 56, v[40:41]
	global_load_dword v0, v[25:26], off offset:8
	s_waitcnt vmcnt(0)
	v_cmp_ne_u32_e32 vcc, -1, v0
	s_and_saveexec_b64 s[14:15], vcc
	s_cbranch_execz .LBB2_220
; %bb.222:                              ;   in Loop: Header=BB2_221 Depth=2
	global_load_dwordx4 v[0:3], v[25:26], off offset:32
	global_load_dwordx4 v[5:8], v[25:26], off offset:16
	v_mov_b32_e32 v9, 0x41
	v_mov_b32_e32 v10, 0x43
	;; [unrolled: 1-line block ×4, first 2 shown]
	buffer_store_byte v9, off, s[0:3], 0
	buffer_store_byte v10, off, s[0:3], 0 offset:16
	buffer_store_byte v11, off, s[0:3], 0 offset:32
	;; [unrolled: 1-line block ×3, first 2 shown]
	s_waitcnt vmcnt(0)
	buffer_store_dword v5, off, s[0:3], 0 offset:4
	buffer_store_dword v0, off, s[0:3], 0 offset:8
	;; [unrolled: 1-line block ×8, first 2 shown]
	v_mov_b32_e32 v14, v3
	v_mov_b32_e32 v15, v2
	;; [unrolled: 1-line block ×3, first 2 shown]
	v_cmp_lt_u32_e32 vcc, 1, v0
	v_mov_b32_e32 v13, v0
	s_and_saveexec_b64 s[8:9], vcc
	s_cbranch_execz .LBB2_236
; %bb.223:                              ;   in Loop: Header=BB2_221 Depth=2
	v_cvt_f64_u32_e32 v[9:10], v0
	v_mov_b32_e32 v13, 2
	v_cmp_ngt_f64_e32 vcc, v[48:49], v[9:10]
	s_and_saveexec_b64 s[16:17], vcc
	s_cbranch_execz .LBB2_235
; %bb.224:                              ;   in Loop: Header=BB2_221 Depth=2
	buffer_load_dword v17, off, s[0:3], 0 offset:80 ; 4-byte Folded Reload
	buffer_load_dword v18, off, s[0:3], 0 offset:84 ; 4-byte Folded Reload
	v_cvt_f64_u32_e32 v[11:12], v5
	v_cmp_nle_f64_e64 s[4:5], v[48:49], v[9:10]
	v_mov_b32_e32 v13, 3
	v_cmp_ngt_f64_e64 s[6:7], v[48:49], v[11:12]
	s_waitcnt vmcnt(0)
	v_cmp_ngt_f64_e32 vcc, v[17:18], v[9:10]
	s_or_b64 s[4:5], vcc, s[4:5]
	s_or_b64 s[18:19], s[4:5], s[6:7]
	s_and_saveexec_b64 s[6:7], s[18:19]
	s_cbranch_execz .LBB2_234
; %bb.225:                              ;   in Loop: Header=BB2_221 Depth=2
	v_cmp_nle_f64_e32 vcc, v[48:49], v[11:12]
	v_mov_b32_e32 v13, 4
	s_or_b64 s[4:5], s[4:5], vcc
	s_and_saveexec_b64 s[18:19], s[4:5]
	s_cbranch_execz .LBB2_233
; %bb.226:                              ;   in Loop: Header=BB2_221 Depth=2
	buffer_load_dword v17, off, s[0:3], 0 offset:80 ; 4-byte Folded Reload
	buffer_load_dword v18, off, s[0:3], 0 offset:84 ; 4-byte Folded Reload
	v_cmp_ngt_f64_e64 s[4:5], v[48:49], v[11:12]
	v_mov_b32_e32 v13, 5
	s_waitcnt vmcnt(0)
	v_cmp_nle_f64_e64 s[22:23], v[17:18], v[9:10]
	v_cmp_le_f64_e32 vcc, v[17:18], v[9:10]
	s_or_b64 s[4:5], s[22:23], s[4:5]
	s_and_saveexec_b64 s[20:21], s[4:5]
	s_cbranch_execz .LBB2_232
; %bb.227:                              ;   in Loop: Header=BB2_221 Depth=2
	s_and_saveexec_b64 s[24:25], vcc
	s_cbranch_execz .LBB2_229
; %bb.228:                              ;   in Loop: Header=BB2_221 Depth=2
	buffer_load_dword v9, off, s[0:3], 0 offset:80 ; 4-byte Folded Reload
	buffer_load_dword v10, off, s[0:3], 0 offset:84 ; 4-byte Folded Reload
	v_cmp_nlt_f64_e32 vcc, v[48:49], v[11:12]
	s_andn2_b64 s[22:23], s[22:23], exec
	s_waitcnt vmcnt(0)
	v_cmp_ngt_f64_e64 s[4:5], v[9:10], v[11:12]
	s_or_b64 s[4:5], vcc, s[4:5]
	s_and_b64 s[4:5], s[4:5], exec
	s_or_b64 s[22:23], s[22:23], s[4:5]
.LBB2_229:                              ;   in Loop: Header=BB2_221 Depth=2
	s_or_b64 exec, exec, s[24:25]
	v_mov_b32_e32 v13, 6
	s_and_saveexec_b64 s[4:5], s[22:23]
; %bb.230:                              ;   in Loop: Header=BB2_221 Depth=2
	v_mov_b32_e32 v13, 7
; %bb.231:                              ;   in Loop: Header=BB2_221 Depth=2
	s_or_b64 exec, exec, s[4:5]
.LBB2_232:                              ;   in Loop: Header=BB2_221 Depth=2
	s_or_b64 exec, exec, s[20:21]
.LBB2_233:                              ;   in Loop: Header=BB2_221 Depth=2
	s_or_b64 exec, exec, s[18:19]
.LBB2_234:                              ;   in Loop: Header=BB2_221 Depth=2
	s_or_b64 exec, exec, s[6:7]
.LBB2_235:                              ;   in Loop: Header=BB2_221 Depth=2
	s_or_b64 exec, exec, s[16:17]
.LBB2_236:                              ;   in Loop: Header=BB2_221 Depth=2
	s_or_b64 exec, exec, s[8:9]
	v_cmp_lt_u32_e32 vcc, 1, v1
	buffer_store_dword v13, off, s[0:3], 0 offset:12
	s_and_saveexec_b64 s[8:9], vcc
	s_cbranch_execz .LBB2_250
; %bb.237:                              ;   in Loop: Header=BB2_221 Depth=2
	v_cvt_f64_u32_e32 v[9:10], v1
	v_mov_b32_e32 v16, 2
	v_cmp_ngt_f64_e32 vcc, v[48:49], v[9:10]
	s_and_saveexec_b64 s[16:17], vcc
	s_cbranch_execz .LBB2_249
; %bb.238:                              ;   in Loop: Header=BB2_221 Depth=2
	buffer_load_dword v16, off, s[0:3], 0 offset:80 ; 4-byte Folded Reload
	buffer_load_dword v17, off, s[0:3], 0 offset:84 ; 4-byte Folded Reload
	v_cvt_f64_u32_e32 v[11:12], v6
	v_cmp_nle_f64_e64 s[4:5], v[48:49], v[9:10]
	v_cmp_ngt_f64_e64 s[6:7], v[48:49], v[11:12]
	s_waitcnt vmcnt(0)
	v_cmp_ngt_f64_e32 vcc, v[16:17], v[9:10]
	v_mov_b32_e32 v16, 3
	s_or_b64 s[4:5], vcc, s[4:5]
	s_or_b64 s[18:19], s[4:5], s[6:7]
	s_and_saveexec_b64 s[6:7], s[18:19]
	s_cbranch_execz .LBB2_248
; %bb.239:                              ;   in Loop: Header=BB2_221 Depth=2
	v_cmp_nle_f64_e32 vcc, v[48:49], v[11:12]
	v_mov_b32_e32 v16, 4
	s_or_b64 s[4:5], s[4:5], vcc
	s_and_saveexec_b64 s[18:19], s[4:5]
	s_cbranch_execz .LBB2_247
; %bb.240:                              ;   in Loop: Header=BB2_221 Depth=2
	buffer_load_dword v16, off, s[0:3], 0 offset:80 ; 4-byte Folded Reload
	buffer_load_dword v17, off, s[0:3], 0 offset:84 ; 4-byte Folded Reload
	v_cmp_ngt_f64_e64 s[4:5], v[48:49], v[11:12]
	s_waitcnt vmcnt(0)
	v_cmp_nle_f64_e64 s[22:23], v[16:17], v[9:10]
	v_cmp_le_f64_e32 vcc, v[16:17], v[9:10]
	v_mov_b32_e32 v16, 5
	s_or_b64 s[4:5], s[22:23], s[4:5]
	s_and_saveexec_b64 s[20:21], s[4:5]
	s_cbranch_execz .LBB2_246
; %bb.241:                              ;   in Loop: Header=BB2_221 Depth=2
	s_and_saveexec_b64 s[24:25], vcc
	s_cbranch_execz .LBB2_243
; %bb.242:                              ;   in Loop: Header=BB2_221 Depth=2
	buffer_load_dword v9, off, s[0:3], 0 offset:80 ; 4-byte Folded Reload
	buffer_load_dword v10, off, s[0:3], 0 offset:84 ; 4-byte Folded Reload
	v_cmp_nlt_f64_e32 vcc, v[48:49], v[11:12]
	s_andn2_b64 s[22:23], s[22:23], exec
	s_waitcnt vmcnt(0)
	v_cmp_ngt_f64_e64 s[4:5], v[9:10], v[11:12]
	s_or_b64 s[4:5], vcc, s[4:5]
	s_and_b64 s[4:5], s[4:5], exec
	s_or_b64 s[22:23], s[22:23], s[4:5]
.LBB2_243:                              ;   in Loop: Header=BB2_221 Depth=2
	s_or_b64 exec, exec, s[24:25]
	v_mov_b32_e32 v16, 6
	s_and_saveexec_b64 s[4:5], s[22:23]
; %bb.244:                              ;   in Loop: Header=BB2_221 Depth=2
	v_mov_b32_e32 v16, 7
; %bb.245:                              ;   in Loop: Header=BB2_221 Depth=2
	s_or_b64 exec, exec, s[4:5]
.LBB2_246:                              ;   in Loop: Header=BB2_221 Depth=2
	s_or_b64 exec, exec, s[20:21]
.LBB2_247:                              ;   in Loop: Header=BB2_221 Depth=2
	s_or_b64 exec, exec, s[18:19]
.LBB2_248:                              ;   in Loop: Header=BB2_221 Depth=2
	s_or_b64 exec, exec, s[6:7]
.LBB2_249:                              ;   in Loop: Header=BB2_221 Depth=2
	s_or_b64 exec, exec, s[16:17]
.LBB2_250:                              ;   in Loop: Header=BB2_221 Depth=2
	s_or_b64 exec, exec, s[8:9]
	v_cmp_lt_u32_e32 vcc, 1, v2
	buffer_store_dword v16, off, s[0:3], 0 offset:28
	s_and_saveexec_b64 s[8:9], vcc
	s_cbranch_execz .LBB2_264
; %bb.251:                              ;   in Loop: Header=BB2_221 Depth=2
	v_cvt_f64_u32_e32 v[9:10], v2
	v_mov_b32_e32 v15, 2
	v_cmp_ngt_f64_e32 vcc, v[48:49], v[9:10]
	s_and_saveexec_b64 s[16:17], vcc
	s_cbranch_execz .LBB2_263
; %bb.252:                              ;   in Loop: Header=BB2_221 Depth=2
	buffer_load_dword v17, off, s[0:3], 0 offset:80 ; 4-byte Folded Reload
	buffer_load_dword v18, off, s[0:3], 0 offset:84 ; 4-byte Folded Reload
	v_cvt_f64_u32_e32 v[11:12], v7
	v_cmp_nle_f64_e64 s[4:5], v[48:49], v[9:10]
	v_mov_b32_e32 v15, 3
	v_cmp_ngt_f64_e64 s[6:7], v[48:49], v[11:12]
	s_waitcnt vmcnt(0)
	v_cmp_ngt_f64_e32 vcc, v[17:18], v[9:10]
	s_or_b64 s[4:5], vcc, s[4:5]
	s_or_b64 s[18:19], s[4:5], s[6:7]
	s_and_saveexec_b64 s[6:7], s[18:19]
	s_cbranch_execz .LBB2_262
; %bb.253:                              ;   in Loop: Header=BB2_221 Depth=2
	v_cmp_nle_f64_e32 vcc, v[48:49], v[11:12]
	v_mov_b32_e32 v15, 4
	s_or_b64 s[4:5], s[4:5], vcc
	s_and_saveexec_b64 s[18:19], s[4:5]
	s_cbranch_execz .LBB2_261
; %bb.254:                              ;   in Loop: Header=BB2_221 Depth=2
	buffer_load_dword v17, off, s[0:3], 0 offset:80 ; 4-byte Folded Reload
	buffer_load_dword v18, off, s[0:3], 0 offset:84 ; 4-byte Folded Reload
	v_cmp_ngt_f64_e64 s[4:5], v[48:49], v[11:12]
	v_mov_b32_e32 v15, 5
	s_waitcnt vmcnt(0)
	v_cmp_nle_f64_e64 s[22:23], v[17:18], v[9:10]
	v_cmp_le_f64_e32 vcc, v[17:18], v[9:10]
	s_or_b64 s[4:5], s[22:23], s[4:5]
	s_and_saveexec_b64 s[20:21], s[4:5]
	s_cbranch_execz .LBB2_260
; %bb.255:                              ;   in Loop: Header=BB2_221 Depth=2
	s_and_saveexec_b64 s[24:25], vcc
	s_cbranch_execz .LBB2_257
; %bb.256:                              ;   in Loop: Header=BB2_221 Depth=2
	buffer_load_dword v9, off, s[0:3], 0 offset:80 ; 4-byte Folded Reload
	buffer_load_dword v10, off, s[0:3], 0 offset:84 ; 4-byte Folded Reload
	v_cmp_nlt_f64_e32 vcc, v[48:49], v[11:12]
	s_andn2_b64 s[22:23], s[22:23], exec
	s_waitcnt vmcnt(0)
	v_cmp_ngt_f64_e64 s[4:5], v[9:10], v[11:12]
	s_or_b64 s[4:5], vcc, s[4:5]
	s_and_b64 s[4:5], s[4:5], exec
	s_or_b64 s[22:23], s[22:23], s[4:5]
.LBB2_257:                              ;   in Loop: Header=BB2_221 Depth=2
	s_or_b64 exec, exec, s[24:25]
	v_mov_b32_e32 v15, 6
	s_and_saveexec_b64 s[4:5], s[22:23]
; %bb.258:                              ;   in Loop: Header=BB2_221 Depth=2
	v_mov_b32_e32 v15, 7
; %bb.259:                              ;   in Loop: Header=BB2_221 Depth=2
	s_or_b64 exec, exec, s[4:5]
.LBB2_260:                              ;   in Loop: Header=BB2_221 Depth=2
	s_or_b64 exec, exec, s[20:21]
.LBB2_261:                              ;   in Loop: Header=BB2_221 Depth=2
	s_or_b64 exec, exec, s[18:19]
.LBB2_262:                              ;   in Loop: Header=BB2_221 Depth=2
	s_or_b64 exec, exec, s[6:7]
.LBB2_263:                              ;   in Loop: Header=BB2_221 Depth=2
	s_or_b64 exec, exec, s[16:17]
.LBB2_264:                              ;   in Loop: Header=BB2_221 Depth=2
	s_or_b64 exec, exec, s[8:9]
	v_cmp_lt_u32_e32 vcc, 1, v3
	buffer_store_dword v15, off, s[0:3], 0 offset:44
	s_and_saveexec_b64 s[8:9], vcc
	s_cbranch_execz .LBB2_278
; %bb.265:                              ;   in Loop: Header=BB2_221 Depth=2
	v_cvt_f64_u32_e32 v[9:10], v3
	v_mov_b32_e32 v14, 2
	v_cmp_ngt_f64_e32 vcc, v[48:49], v[9:10]
	s_and_saveexec_b64 s[16:17], vcc
	s_cbranch_execz .LBB2_277
; %bb.266:                              ;   in Loop: Header=BB2_221 Depth=2
	buffer_load_dword v17, off, s[0:3], 0 offset:80 ; 4-byte Folded Reload
	buffer_load_dword v18, off, s[0:3], 0 offset:84 ; 4-byte Folded Reload
	v_cvt_f64_u32_e32 v[11:12], v8
	v_cmp_nle_f64_e64 s[4:5], v[48:49], v[9:10]
	v_mov_b32_e32 v14, 3
	v_cmp_ngt_f64_e64 s[6:7], v[48:49], v[11:12]
	s_waitcnt vmcnt(0)
	v_cmp_ngt_f64_e32 vcc, v[17:18], v[9:10]
	s_or_b64 s[4:5], vcc, s[4:5]
	s_or_b64 s[18:19], s[4:5], s[6:7]
	s_and_saveexec_b64 s[6:7], s[18:19]
	s_cbranch_execz .LBB2_276
; %bb.267:                              ;   in Loop: Header=BB2_221 Depth=2
	v_cmp_nle_f64_e32 vcc, v[48:49], v[11:12]
	v_mov_b32_e32 v14, 4
	s_or_b64 s[4:5], s[4:5], vcc
	s_and_saveexec_b64 s[18:19], s[4:5]
	s_cbranch_execz .LBB2_275
; %bb.268:                              ;   in Loop: Header=BB2_221 Depth=2
	buffer_load_dword v17, off, s[0:3], 0 offset:80 ; 4-byte Folded Reload
	buffer_load_dword v18, off, s[0:3], 0 offset:84 ; 4-byte Folded Reload
	v_cmp_ngt_f64_e64 s[4:5], v[48:49], v[11:12]
	v_mov_b32_e32 v14, 5
	s_waitcnt vmcnt(0)
	v_cmp_nle_f64_e64 s[22:23], v[17:18], v[9:10]
	v_cmp_le_f64_e32 vcc, v[17:18], v[9:10]
	s_or_b64 s[4:5], s[22:23], s[4:5]
	s_and_saveexec_b64 s[20:21], s[4:5]
	s_cbranch_execz .LBB2_274
; %bb.269:                              ;   in Loop: Header=BB2_221 Depth=2
	s_and_saveexec_b64 s[24:25], vcc
	s_cbranch_execz .LBB2_271
; %bb.270:                              ;   in Loop: Header=BB2_221 Depth=2
	buffer_load_dword v9, off, s[0:3], 0 offset:80 ; 4-byte Folded Reload
	buffer_load_dword v10, off, s[0:3], 0 offset:84 ; 4-byte Folded Reload
	v_cmp_nlt_f64_e32 vcc, v[48:49], v[11:12]
	s_andn2_b64 s[22:23], s[22:23], exec
	s_waitcnt vmcnt(0)
	v_cmp_ngt_f64_e64 s[4:5], v[9:10], v[11:12]
	s_or_b64 s[4:5], vcc, s[4:5]
	s_and_b64 s[4:5], s[4:5], exec
	s_or_b64 s[22:23], s[22:23], s[4:5]
.LBB2_271:                              ;   in Loop: Header=BB2_221 Depth=2
	s_or_b64 exec, exec, s[24:25]
	v_mov_b32_e32 v14, 6
	s_and_saveexec_b64 s[4:5], s[22:23]
; %bb.272:                              ;   in Loop: Header=BB2_221 Depth=2
	v_mov_b32_e32 v14, 7
; %bb.273:                              ;   in Loop: Header=BB2_221 Depth=2
	s_or_b64 exec, exec, s[4:5]
.LBB2_274:                              ;   in Loop: Header=BB2_221 Depth=2
	s_or_b64 exec, exec, s[20:21]
.LBB2_275:                              ;   in Loop: Header=BB2_221 Depth=2
	s_or_b64 exec, exec, s[18:19]
.LBB2_276:                              ;   in Loop: Header=BB2_221 Depth=2
	s_or_b64 exec, exec, s[6:7]
.LBB2_277:                              ;   in Loop: Header=BB2_221 Depth=2
	s_or_b64 exec, exec, s[16:17]
.LBB2_278:                              ;   in Loop: Header=BB2_221 Depth=2
	s_or_b64 exec, exec, s[8:9]
	v_cmp_ne_u32_e32 vcc, v13, v16
	buffer_store_dword v14, off, s[0:3], 0 offset:60
                                        ; implicit-def: $sgpr4_sgpr5
	s_and_saveexec_b64 s[6:7], vcc
	s_xor_b64 s[6:7], exec, s[6:7]
	s_cbranch_execnz .LBB2_349
; %bb.279:                              ;   in Loop: Header=BB2_221 Depth=2
	s_andn2_saveexec_b64 s[6:7], s[6:7]
	s_cbranch_execnz .LBB2_350
.LBB2_280:                              ;   in Loop: Header=BB2_221 Depth=2
	s_or_b64 exec, exec, s[6:7]
	s_and_saveexec_b64 s[6:7], s[4:5]
	s_cbranch_execz .LBB2_282
.LBB2_281:                              ;   in Loop: Header=BB2_221 Depth=2
	v_mov_b32_e32 v0, s45
	buffer_load_dword v1, off, s[0:3], 0
	buffer_load_dword v5, off, s[0:3], 0 offset:8
	buffer_load_dword v6, off, s[0:3], 0 offset:12
	buffer_load_dword v9, v0, s[0:3], 0 offen
	buffer_load_dword v10, v0, s[0:3], 0 offen offset:4
	buffer_load_dword v11, v0, s[0:3], 0 offen offset:8
	;; [unrolled: 1-line block ×3, first 2 shown]
	buffer_load_dword v12, off, s[0:3], 0 offset:4
	s_waitcnt vmcnt(0)
	ds_write2_b32 v47, v5, v6 offset0:2 offset1:3
	buffer_store_dword v1, v0, s[0:3], 0 offen
	buffer_store_dword v5, v0, s[0:3], 0 offen offset:8
	ds_write2_b32 v47, v1, v12 offset1:1
	buffer_store_dword v12, v0, s[0:3], 0 offen offset:4
	buffer_store_dword v9, off, s[0:3], 0
	buffer_store_dword v10, off, s[0:3], 0 offset:4
	buffer_store_dword v11, off, s[0:3], 0 offset:8
	buffer_store_dword v13, off, s[0:3], 0 offset:12
	buffer_store_dword v6, v0, s[0:3], 0 offen offset:12
.LBB2_282:                              ;   in Loop: Header=BB2_221 Depth=2
	s_or_b64 exec, exec, s[6:7]
	v_cmp_ne_u32_e32 vcc, v13, v15
                                        ; implicit-def: $sgpr4_sgpr5
	s_and_saveexec_b64 s[6:7], vcc
	s_xor_b64 s[6:7], exec, s[6:7]
	s_cbranch_execnz .LBB2_355
; %bb.283:                              ;   in Loop: Header=BB2_221 Depth=2
	s_andn2_saveexec_b64 s[6:7], s[6:7]
	s_cbranch_execnz .LBB2_356
.LBB2_284:                              ;   in Loop: Header=BB2_221 Depth=2
	s_or_b64 exec, exec, s[6:7]
	s_and_saveexec_b64 s[6:7], s[4:5]
	s_cbranch_execz .LBB2_286
.LBB2_285:                              ;   in Loop: Header=BB2_221 Depth=2
	v_mov_b32_e32 v0, s86
	buffer_load_dword v1, off, s[0:3], 0
	buffer_load_dword v2, off, s[0:3], 0 offset:8
	buffer_load_dword v5, off, s[0:3], 0 offset:12
	buffer_load_dword v6, v0, s[0:3], 0 offen
	buffer_load_dword v7, v0, s[0:3], 0 offen offset:4
	buffer_load_dword v9, v0, s[0:3], 0 offen offset:8
	;; [unrolled: 1-line block ×3, first 2 shown]
	buffer_load_dword v10, off, s[0:3], 0 offset:4
	s_waitcnt vmcnt(0)
	ds_write2_b32 v47, v2, v5 offset0:2 offset1:3
	buffer_store_dword v1, v0, s[0:3], 0 offen
	buffer_store_dword v2, v0, s[0:3], 0 offen offset:8
	ds_write2_b32 v47, v1, v10 offset1:1
	buffer_store_dword v10, v0, s[0:3], 0 offen offset:4
	buffer_store_dword v6, off, s[0:3], 0
	buffer_store_dword v7, off, s[0:3], 0 offset:4
	buffer_store_dword v9, off, s[0:3], 0 offset:8
	;; [unrolled: 1-line block ×3, first 2 shown]
	buffer_store_dword v5, v0, s[0:3], 0 offen offset:12
.LBB2_286:                              ;   in Loop: Header=BB2_221 Depth=2
	s_or_b64 exec, exec, s[6:7]
	v_cmp_ne_u32_e32 vcc, v13, v14
                                        ; implicit-def: $sgpr4_sgpr5
	s_and_saveexec_b64 s[6:7], vcc
	s_xor_b64 s[6:7], exec, s[6:7]
	s_cbranch_execnz .LBB2_361
; %bb.287:                              ;   in Loop: Header=BB2_221 Depth=2
	s_andn2_saveexec_b64 s[6:7], s[6:7]
	s_cbranch_execnz .LBB2_362
.LBB2_288:                              ;   in Loop: Header=BB2_221 Depth=2
	s_or_b64 exec, exec, s[6:7]
	s_and_saveexec_b64 s[6:7], s[4:5]
	s_cbranch_execz .LBB2_290
.LBB2_289:                              ;   in Loop: Header=BB2_221 Depth=2
	v_mov_b32_e32 v0, s87
	buffer_load_dword v1, off, s[0:3], 0
	buffer_load_dword v2, off, s[0:3], 0 offset:8
	buffer_load_dword v3, off, s[0:3], 0 offset:12
	buffer_load_dword v5, v0, s[0:3], 0 offen
	buffer_load_dword v6, v0, s[0:3], 0 offen offset:4
	buffer_load_dword v7, v0, s[0:3], 0 offen offset:8
	;; [unrolled: 1-line block ×3, first 2 shown]
	buffer_load_dword v8, off, s[0:3], 0 offset:4
	s_waitcnt vmcnt(0)
	ds_write2_b32 v47, v2, v3 offset0:2 offset1:3
	buffer_store_dword v1, v0, s[0:3], 0 offen
	buffer_store_dword v2, v0, s[0:3], 0 offen offset:8
	ds_write2_b32 v47, v1, v8 offset1:1
	buffer_store_dword v8, v0, s[0:3], 0 offen offset:4
	buffer_store_dword v5, off, s[0:3], 0
	buffer_store_dword v6, off, s[0:3], 0 offset:4
	buffer_store_dword v7, off, s[0:3], 0 offset:8
	;; [unrolled: 1-line block ×3, first 2 shown]
	buffer_store_dword v3, v0, s[0:3], 0 offen offset:12
.LBB2_290:                              ;   in Loop: Header=BB2_221 Depth=2
	s_or_b64 exec, exec, s[6:7]
	buffer_load_dword v0, off, s[0:3], 0 offset:28
                                        ; implicit-def: $sgpr4_sgpr5
	s_waitcnt vmcnt(0)
	v_cmp_ne_u32_e32 vcc, v0, v13
	s_and_saveexec_b64 s[6:7], vcc
	s_xor_b64 s[6:7], exec, s[6:7]
	s_cbranch_execnz .LBB2_367
; %bb.291:                              ;   in Loop: Header=BB2_221 Depth=2
	s_andn2_saveexec_b64 s[6:7], s[6:7]
	s_cbranch_execnz .LBB2_368
.LBB2_292:                              ;   in Loop: Header=BB2_221 Depth=2
	s_or_b64 exec, exec, s[6:7]
	s_and_saveexec_b64 s[6:7], s[4:5]
	s_cbranch_execz .LBB2_294
.LBB2_293:                              ;   in Loop: Header=BB2_221 Depth=2
	buffer_load_dword v0, off, s[0:3], 0 offset:12
	v_mov_b32_e32 v1, s45
	buffer_load_dword v2, v1, s[0:3], 0 offen offset:4
	buffer_load_dword v3, v1, s[0:3], 0 offen offset:12
	;; [unrolled: 1-line block ×3, first 2 shown]
	buffer_load_dword v6, v1, s[0:3], 0 offen
	buffer_load_dword v7, off, s[0:3], 0
	buffer_load_dword v8, off, s[0:3], 0 offset:4
	buffer_load_dword v9, off, s[0:3], 0 offset:8
	s_waitcnt vmcnt(0)
	buffer_store_dword v0, v1, s[0:3], 0 offen offset:12
	buffer_load_dword v0, off, s[0:3], 0 offset:28
	ds_write2_b32 v47, v5, v3 offset0:2 offset1:3
	ds_write2_b32 v47, v6, v2 offset1:1
	buffer_store_dword v7, v1, s[0:3], 0 offen
	buffer_store_dword v8, v1, s[0:3], 0 offen offset:4
	buffer_store_dword v9, v1, s[0:3], 0 offen offset:8
	buffer_store_dword v6, off, s[0:3], 0
	buffer_store_dword v2, off, s[0:3], 0 offset:4
	buffer_store_dword v5, off, s[0:3], 0 offset:8
	buffer_store_dword v3, off, s[0:3], 0 offset:12
.LBB2_294:                              ;   in Loop: Header=BB2_221 Depth=2
	s_or_b64 exec, exec, s[6:7]
	buffer_load_dword v1, off, s[0:3], 0 offset:44
                                        ; implicit-def: $sgpr4_sgpr5
	s_waitcnt vmcnt(0)
	v_cmp_ne_u32_e32 vcc, v0, v1
	s_and_saveexec_b64 s[6:7], vcc
	s_xor_b64 s[6:7], exec, s[6:7]
	s_cbranch_execnz .LBB2_373
; %bb.295:                              ;   in Loop: Header=BB2_221 Depth=2
	s_andn2_saveexec_b64 s[6:7], s[6:7]
	s_cbranch_execnz .LBB2_374
.LBB2_296:                              ;   in Loop: Header=BB2_221 Depth=2
	s_or_b64 exec, exec, s[6:7]
	s_and_saveexec_b64 s[6:7], s[4:5]
	s_cbranch_execz .LBB2_298
.LBB2_297:                              ;   in Loop: Header=BB2_221 Depth=2
	v_mov_b32_e32 v1, s86
	buffer_load_dword v0, v1, s[0:3], 0 offen offset:12
	v_mov_b32_e32 v2, s45
	buffer_load_dword v3, v2, s[0:3], 0 offen
	buffer_load_dword v5, v2, s[0:3], 0 offen offset:8
	buffer_load_dword v6, v2, s[0:3], 0 offen offset:12
	buffer_load_dword v7, v1, s[0:3], 0 offen
	buffer_load_dword v8, v1, s[0:3], 0 offen offset:4
	buffer_load_dword v9, v1, s[0:3], 0 offen offset:8
	;; [unrolled: 1-line block ×3, first 2 shown]
	s_waitcnt vmcnt(0)
	buffer_store_dword v0, v2, s[0:3], 0 offen offset:12
	buffer_load_dword v0, off, s[0:3], 0 offset:28
	ds_write2_b32 v47, v5, v6 offset0:2 offset1:3
	ds_write2_b32 v47, v3, v10 offset1:1
	buffer_store_dword v7, v2, s[0:3], 0 offen
	buffer_store_dword v8, v2, s[0:3], 0 offen offset:4
	buffer_store_dword v9, v2, s[0:3], 0 offen offset:8
	buffer_store_dword v3, v1, s[0:3], 0 offen
	buffer_store_dword v10, v1, s[0:3], 0 offen offset:4
	buffer_store_dword v5, v1, s[0:3], 0 offen offset:8
	;; [unrolled: 1-line block ×3, first 2 shown]
.LBB2_298:                              ;   in Loop: Header=BB2_221 Depth=2
	s_or_b64 exec, exec, s[6:7]
	buffer_load_dword v1, off, s[0:3], 0 offset:60
                                        ; implicit-def: $sgpr4_sgpr5
	s_waitcnt vmcnt(0)
	v_cmp_ne_u32_e32 vcc, v0, v1
	s_and_saveexec_b64 s[6:7], vcc
	s_xor_b64 s[6:7], exec, s[6:7]
	s_cbranch_execnz .LBB2_379
; %bb.299:                              ;   in Loop: Header=BB2_221 Depth=2
	s_andn2_saveexec_b64 s[6:7], s[6:7]
	s_cbranch_execnz .LBB2_380
.LBB2_300:                              ;   in Loop: Header=BB2_221 Depth=2
	s_or_b64 exec, exec, s[6:7]
	s_and_saveexec_b64 s[6:7], s[4:5]
	s_cbranch_execz .LBB2_302
.LBB2_301:                              ;   in Loop: Header=BB2_221 Depth=2
	v_mov_b32_e32 v0, s45
	v_mov_b32_e32 v1, s87
	buffer_load_dword v2, v0, s[0:3], 0 offen
	buffer_load_dword v3, v0, s[0:3], 0 offen offset:8
	buffer_load_dword v5, v0, s[0:3], 0 offen offset:12
	buffer_load_dword v6, v1, s[0:3], 0 offen
	buffer_load_dword v7, v1, s[0:3], 0 offen offset:4
	buffer_load_dword v8, v1, s[0:3], 0 offen offset:8
	;; [unrolled: 1-line block ×4, first 2 shown]
	s_waitcnt vmcnt(0)
	ds_write2_b32 v47, v3, v5 offset0:2 offset1:3
	ds_write2_b32 v47, v2, v10 offset1:1
	buffer_store_dword v6, v0, s[0:3], 0 offen
	buffer_store_dword v7, v0, s[0:3], 0 offen offset:4
	buffer_store_dword v8, v0, s[0:3], 0 offen offset:8
	;; [unrolled: 1-line block ×3, first 2 shown]
	buffer_store_dword v2, v1, s[0:3], 0 offen
	buffer_store_dword v10, v1, s[0:3], 0 offen offset:4
	buffer_store_dword v3, v1, s[0:3], 0 offen offset:8
	;; [unrolled: 1-line block ×3, first 2 shown]
.LBB2_302:                              ;   in Loop: Header=BB2_221 Depth=2
	s_or_b64 exec, exec, s[6:7]
	buffer_load_dword v0, off, s[0:3], 0 offset:12
	buffer_load_dword v1, off, s[0:3], 0 offset:44
                                        ; implicit-def: $sgpr4_sgpr5
	s_waitcnt vmcnt(0)
	v_cmp_ne_u32_e32 vcc, v1, v0
	s_and_saveexec_b64 s[6:7], vcc
	s_xor_b64 s[6:7], exec, s[6:7]
	s_cbranch_execnz .LBB2_385
; %bb.303:                              ;   in Loop: Header=BB2_221 Depth=2
	s_andn2_saveexec_b64 s[6:7], s[6:7]
	s_cbranch_execnz .LBB2_386
.LBB2_304:                              ;   in Loop: Header=BB2_221 Depth=2
	s_or_b64 exec, exec, s[6:7]
	s_and_saveexec_b64 s[6:7], s[4:5]
	s_cbranch_execz .LBB2_306
.LBB2_305:                              ;   in Loop: Header=BB2_221 Depth=2
	buffer_load_dword v0, off, s[0:3], 0 offset:12
	v_mov_b32_e32 v2, s86
	buffer_load_dword v3, v2, s[0:3], 0 offen offset:4
	buffer_load_dword v5, v2, s[0:3], 0 offen offset:12
	;; [unrolled: 1-line block ×3, first 2 shown]
	buffer_load_dword v7, v2, s[0:3], 0 offen
	buffer_load_dword v8, off, s[0:3], 0
	buffer_load_dword v9, off, s[0:3], 0 offset:4
	buffer_load_dword v10, off, s[0:3], 0 offset:8
	s_waitcnt vmcnt(0)
	buffer_store_dword v0, v2, s[0:3], 0 offen offset:12
	buffer_load_dword v1, off, s[0:3], 0 offset:44
	ds_write2_b32 v47, v6, v5 offset0:2 offset1:3
	ds_write2_b32 v47, v7, v3 offset1:1
	buffer_store_dword v8, v2, s[0:3], 0 offen
	buffer_store_dword v9, v2, s[0:3], 0 offen offset:4
	buffer_store_dword v10, v2, s[0:3], 0 offen offset:8
	buffer_store_dword v7, off, s[0:3], 0
	buffer_store_dword v3, off, s[0:3], 0 offset:4
	buffer_store_dword v6, off, s[0:3], 0 offset:8
	;; [unrolled: 1-line block ×3, first 2 shown]
.LBB2_306:                              ;   in Loop: Header=BB2_221 Depth=2
	s_or_b64 exec, exec, s[6:7]
	buffer_load_dword v0, off, s[0:3], 0 offset:28
                                        ; implicit-def: $sgpr4_sgpr5
	s_waitcnt vmcnt(0)
	v_cmp_ne_u32_e32 vcc, v1, v0
	s_and_saveexec_b64 s[6:7], vcc
	s_xor_b64 s[6:7], exec, s[6:7]
	s_cbranch_execnz .LBB2_391
; %bb.307:                              ;   in Loop: Header=BB2_221 Depth=2
	s_andn2_saveexec_b64 s[6:7], s[6:7]
	s_cbranch_execnz .LBB2_392
.LBB2_308:                              ;   in Loop: Header=BB2_221 Depth=2
	s_or_b64 exec, exec, s[6:7]
	s_and_saveexec_b64 s[6:7], s[4:5]
	s_cbranch_execz .LBB2_310
.LBB2_309:                              ;   in Loop: Header=BB2_221 Depth=2
	v_mov_b32_e32 v0, s45
	buffer_load_dword v1, v0, s[0:3], 0 offen offset:12
	v_mov_b32_e32 v2, s86
	buffer_load_dword v3, v2, s[0:3], 0 offen
	buffer_load_dword v5, v2, s[0:3], 0 offen offset:8
	buffer_load_dword v6, v2, s[0:3], 0 offen offset:12
	buffer_load_dword v7, v0, s[0:3], 0 offen
	buffer_load_dword v8, v0, s[0:3], 0 offen offset:4
	buffer_load_dword v9, v0, s[0:3], 0 offen offset:8
	buffer_load_dword v10, v2, s[0:3], 0 offen offset:4
	s_waitcnt vmcnt(0)
	buffer_store_dword v1, v2, s[0:3], 0 offen offset:12
	buffer_load_dword v1, off, s[0:3], 0 offset:44
	ds_write2_b32 v47, v5, v6 offset0:2 offset1:3
	ds_write2_b32 v47, v3, v10 offset1:1
	buffer_store_dword v7, v2, s[0:3], 0 offen
	buffer_store_dword v8, v2, s[0:3], 0 offen offset:4
	buffer_store_dword v9, v2, s[0:3], 0 offen offset:8
	buffer_store_dword v3, v0, s[0:3], 0 offen
	buffer_store_dword v10, v0, s[0:3], 0 offen offset:4
	buffer_store_dword v5, v0, s[0:3], 0 offen offset:8
	;; [unrolled: 1-line block ×3, first 2 shown]
.LBB2_310:                              ;   in Loop: Header=BB2_221 Depth=2
	s_or_b64 exec, exec, s[6:7]
	buffer_load_dword v0, off, s[0:3], 0 offset:60
                                        ; implicit-def: $sgpr4_sgpr5
	s_waitcnt vmcnt(0)
	v_cmp_ne_u32_e32 vcc, v1, v0
	s_and_saveexec_b64 s[6:7], vcc
	s_xor_b64 s[6:7], exec, s[6:7]
	s_cbranch_execnz .LBB2_397
; %bb.311:                              ;   in Loop: Header=BB2_221 Depth=2
	s_andn2_saveexec_b64 s[6:7], s[6:7]
	s_cbranch_execnz .LBB2_398
.LBB2_312:                              ;   in Loop: Header=BB2_221 Depth=2
	s_or_b64 exec, exec, s[6:7]
	s_and_saveexec_b64 s[6:7], s[4:5]
	s_cbranch_execz .LBB2_314
.LBB2_313:                              ;   in Loop: Header=BB2_221 Depth=2
	v_mov_b32_e32 v1, s86
	buffer_load_dword v2, v1, s[0:3], 0 offen offset:12
	v_mov_b32_e32 v3, s87
	buffer_load_dword v5, v3, s[0:3], 0 offen
	buffer_load_dword v6, v3, s[0:3], 0 offen offset:4
	buffer_load_dword v7, v3, s[0:3], 0 offen offset:8
	buffer_load_dword v8, v1, s[0:3], 0 offen offset:8
	buffer_load_dword v9, v1, s[0:3], 0 offen
	buffer_load_dword v10, v1, s[0:3], 0 offen offset:4
	buffer_load_dword v11, v3, s[0:3], 0 offen offset:12
	s_waitcnt vmcnt(0)
	buffer_store_dword v2, v3, s[0:3], 0 offen offset:12
	buffer_load_dword v0, off, s[0:3], 0 offset:60
	ds_write2_b32 v47, v8, v2 offset0:2 offset1:3
	ds_write2_b32 v47, v9, v10 offset1:1
	buffer_store_dword v5, v1, s[0:3], 0 offen
	buffer_store_dword v6, v1, s[0:3], 0 offen offset:4
	buffer_store_dword v7, v1, s[0:3], 0 offen offset:8
	;; [unrolled: 1-line block ×3, first 2 shown]
	buffer_store_dword v9, v3, s[0:3], 0 offen
	buffer_store_dword v10, v3, s[0:3], 0 offen offset:4
	buffer_store_dword v8, v3, s[0:3], 0 offen offset:8
.LBB2_314:                              ;   in Loop: Header=BB2_221 Depth=2
	s_or_b64 exec, exec, s[6:7]
	buffer_load_dword v1, off, s[0:3], 0 offset:12
                                        ; implicit-def: $sgpr4_sgpr5
	s_waitcnt vmcnt(0)
	v_cmp_ne_u32_e32 vcc, v0, v1
	s_and_saveexec_b64 s[6:7], vcc
	s_xor_b64 s[6:7], exec, s[6:7]
	s_cbranch_execnz .LBB2_403
; %bb.315:                              ;   in Loop: Header=BB2_221 Depth=2
	s_andn2_saveexec_b64 s[6:7], s[6:7]
	s_cbranch_execnz .LBB2_404
.LBB2_316:                              ;   in Loop: Header=BB2_221 Depth=2
	s_or_b64 exec, exec, s[6:7]
	s_and_saveexec_b64 s[6:7], s[4:5]
	s_cbranch_execz .LBB2_318
.LBB2_317:                              ;   in Loop: Header=BB2_221 Depth=2
	buffer_load_dword v0, off, s[0:3], 0 offset:12
	v_mov_b32_e32 v1, s87
	buffer_load_dword v2, v1, s[0:3], 0 offen offset:4
	buffer_load_dword v3, v1, s[0:3], 0 offen offset:12
	;; [unrolled: 1-line block ×3, first 2 shown]
	buffer_load_dword v6, v1, s[0:3], 0 offen
	buffer_load_dword v7, off, s[0:3], 0
	buffer_load_dword v8, off, s[0:3], 0 offset:4
	buffer_load_dword v9, off, s[0:3], 0 offset:8
	s_waitcnt vmcnt(0)
	buffer_store_dword v0, v1, s[0:3], 0 offen offset:12
	buffer_load_dword v0, off, s[0:3], 0 offset:60
	ds_write2_b32 v47, v5, v3 offset0:2 offset1:3
	ds_write2_b32 v47, v6, v2 offset1:1
	buffer_store_dword v7, v1, s[0:3], 0 offen
	buffer_store_dword v8, v1, s[0:3], 0 offen offset:4
	buffer_store_dword v9, v1, s[0:3], 0 offen offset:8
	buffer_store_dword v6, off, s[0:3], 0
	buffer_store_dword v2, off, s[0:3], 0 offset:4
	buffer_store_dword v5, off, s[0:3], 0 offset:8
	;; [unrolled: 1-line block ×3, first 2 shown]
.LBB2_318:                              ;   in Loop: Header=BB2_221 Depth=2
	s_or_b64 exec, exec, s[6:7]
	buffer_load_dword v1, off, s[0:3], 0 offset:28
                                        ; implicit-def: $sgpr4_sgpr5
	s_waitcnt vmcnt(0)
	v_cmp_ne_u32_e32 vcc, v0, v1
	s_and_saveexec_b64 s[6:7], vcc
	s_xor_b64 s[6:7], exec, s[6:7]
	s_cbranch_execnz .LBB2_409
; %bb.319:                              ;   in Loop: Header=BB2_221 Depth=2
	s_andn2_saveexec_b64 s[6:7], s[6:7]
	s_cbranch_execnz .LBB2_410
.LBB2_320:                              ;   in Loop: Header=BB2_221 Depth=2
	s_or_b64 exec, exec, s[6:7]
	s_and_saveexec_b64 s[6:7], s[4:5]
	s_cbranch_execz .LBB2_322
.LBB2_321:                              ;   in Loop: Header=BB2_221 Depth=2
	v_mov_b32_e32 v1, s45
	buffer_load_dword v0, v1, s[0:3], 0 offen offset:12
	v_mov_b32_e32 v2, s87
	buffer_load_dword v3, v2, s[0:3], 0 offen
	buffer_load_dword v5, v2, s[0:3], 0 offen offset:8
	buffer_load_dword v6, v2, s[0:3], 0 offen offset:12
	buffer_load_dword v7, v1, s[0:3], 0 offen
	buffer_load_dword v8, v1, s[0:3], 0 offen offset:4
	buffer_load_dword v9, v1, s[0:3], 0 offen offset:8
	;; [unrolled: 1-line block ×3, first 2 shown]
	s_waitcnt vmcnt(0)
	buffer_store_dword v0, v2, s[0:3], 0 offen offset:12
	buffer_load_dword v0, off, s[0:3], 0 offset:60
	ds_write2_b32 v47, v5, v6 offset0:2 offset1:3
	ds_write2_b32 v47, v3, v10 offset1:1
	buffer_store_dword v7, v2, s[0:3], 0 offen
	buffer_store_dword v8, v2, s[0:3], 0 offen offset:4
	buffer_store_dword v9, v2, s[0:3], 0 offen offset:8
	buffer_store_dword v3, v1, s[0:3], 0 offen
	buffer_store_dword v10, v1, s[0:3], 0 offen offset:4
	buffer_store_dword v5, v1, s[0:3], 0 offen offset:8
	;; [unrolled: 1-line block ×3, first 2 shown]
.LBB2_322:                              ;   in Loop: Header=BB2_221 Depth=2
	s_or_b64 exec, exec, s[6:7]
	buffer_load_dword v1, off, s[0:3], 0 offset:44
                                        ; implicit-def: $sgpr4_sgpr5
	s_waitcnt vmcnt(0)
	v_cmp_ne_u32_e32 vcc, v0, v1
	s_and_saveexec_b64 s[6:7], vcc
	s_xor_b64 s[6:7], exec, s[6:7]
	s_cbranch_execnz .LBB2_415
; %bb.323:                              ;   in Loop: Header=BB2_221 Depth=2
	s_andn2_saveexec_b64 s[6:7], s[6:7]
	s_cbranch_execnz .LBB2_416
.LBB2_324:                              ;   in Loop: Header=BB2_221 Depth=2
	s_or_b64 exec, exec, s[6:7]
	s_and_saveexec_b64 s[6:7], s[4:5]
	s_cbranch_execz .LBB2_326
.LBB2_325:                              ;   in Loop: Header=BB2_221 Depth=2
	v_mov_b32_e32 v0, s87
	v_mov_b32_e32 v1, s86
	buffer_load_dword v2, v0, s[0:3], 0 offen
	buffer_load_dword v3, v0, s[0:3], 0 offen offset:8
	buffer_load_dword v5, v0, s[0:3], 0 offen offset:12
	buffer_load_dword v6, v1, s[0:3], 0 offen
	buffer_load_dword v7, v1, s[0:3], 0 offen offset:4
	buffer_load_dword v8, v1, s[0:3], 0 offen offset:8
	;; [unrolled: 1-line block ×4, first 2 shown]
	s_waitcnt vmcnt(0)
	ds_write2_b32 v47, v3, v5 offset0:2 offset1:3
	ds_write2_b32 v47, v2, v10 offset1:1
	buffer_store_dword v6, v0, s[0:3], 0 offen
	buffer_store_dword v7, v0, s[0:3], 0 offen offset:4
	buffer_store_dword v8, v0, s[0:3], 0 offen offset:8
	;; [unrolled: 1-line block ×3, first 2 shown]
	buffer_store_dword v2, v1, s[0:3], 0 offen
	buffer_store_dword v10, v1, s[0:3], 0 offen offset:4
	buffer_store_dword v3, v1, s[0:3], 0 offen offset:8
	;; [unrolled: 1-line block ×3, first 2 shown]
.LBB2_326:                              ;   in Loop: Header=BB2_221 Depth=2
	s_or_b64 exec, exec, s[6:7]
	buffer_load_dword v29, off, s[0:3], 0 offset:12
	buffer_load_dword v28, off, s[0:3], 0 offset:28
	s_waitcnt vmcnt(0)
	v_cmp_lt_i32_e32 vcc, v29, v28
	s_and_saveexec_b64 s[6:7], vcc
	s_cbranch_execz .LBB2_538
; %bb.327:                              ;   in Loop: Header=BB2_221 Depth=2
	s_load_dwordx2 s[8:9], s[64:65], 0x50
	v_readfirstlane_b32 s4, v58
	v_mov_b32_e32 v5, 0
	v_mov_b32_e32 v6, 0
	v_cmp_eq_u32_e64 s[4:5], s4, v58
	s_and_saveexec_b64 s[16:17], s[4:5]
	s_cbranch_execz .LBB2_333
; %bb.328:                              ;   in Loop: Header=BB2_221 Depth=2
	s_waitcnt lgkmcnt(0)
	global_load_dwordx2 v[2:3], v45, s[8:9] offset:24 glc
	s_waitcnt vmcnt(0)
	buffer_wbinvl1_vol
	global_load_dwordx2 v[0:1], v45, s[8:9] offset:40
	global_load_dwordx2 v[5:6], v45, s[8:9]
	s_waitcnt vmcnt(1)
	v_and_b32_e32 v0, v0, v2
	v_and_b32_e32 v1, v1, v3
	v_mul_lo_u32 v1, v1, 24
	v_mul_hi_u32 v7, v0, 24
	v_mul_lo_u32 v0, v0, 24
	v_add_u32_e32 v1, v7, v1
	s_waitcnt vmcnt(0)
	v_add_co_u32_e32 v0, vcc, v5, v0
	v_addc_co_u32_e32 v1, vcc, v6, v1, vcc
	global_load_dwordx2 v[0:1], v[0:1], off glc
	s_waitcnt vmcnt(0)
	global_atomic_cmpswap_x2 v[5:6], v45, v[0:3], s[8:9] offset:24 glc
	s_waitcnt vmcnt(0)
	buffer_wbinvl1_vol
	v_cmp_ne_u64_e32 vcc, v[5:6], v[2:3]
	s_and_saveexec_b64 s[18:19], vcc
	s_cbranch_execz .LBB2_332
; %bb.329:                              ;   in Loop: Header=BB2_221 Depth=2
	s_mov_b64 s[20:21], 0
.LBB2_330:                              ;   Parent Loop BB2_13 Depth=1
                                        ;     Parent Loop BB2_221 Depth=2
                                        ; =>    This Inner Loop Header: Depth=3
	s_sleep 1
	global_load_dwordx2 v[0:1], v45, s[8:9] offset:40
	global_load_dwordx2 v[7:8], v45, s[8:9]
	v_mov_b32_e32 v2, v5
	v_mov_b32_e32 v3, v6
	s_waitcnt vmcnt(1)
	v_and_b32_e32 v0, v0, v2
	s_waitcnt vmcnt(0)
	v_mad_u64_u32 v[5:6], s[22:23], v0, 24, v[7:8]
	v_and_b32_e32 v1, v1, v3
	v_mov_b32_e32 v0, v6
	v_mad_u64_u32 v[0:1], s[22:23], v1, 24, v[0:1]
	v_mov_b32_e32 v6, v0
	global_load_dwordx2 v[0:1], v[5:6], off glc
	s_waitcnt vmcnt(0)
	global_atomic_cmpswap_x2 v[5:6], v45, v[0:3], s[8:9] offset:24 glc
	s_waitcnt vmcnt(0)
	buffer_wbinvl1_vol
	v_cmp_eq_u64_e32 vcc, v[5:6], v[2:3]
	s_or_b64 s[20:21], vcc, s[20:21]
	s_andn2_b64 exec, exec, s[20:21]
	s_cbranch_execnz .LBB2_330
; %bb.331:                              ;   in Loop: Header=BB2_221 Depth=2
	s_or_b64 exec, exec, s[20:21]
.LBB2_332:                              ;   in Loop: Header=BB2_221 Depth=2
	s_or_b64 exec, exec, s[18:19]
.LBB2_333:                              ;   in Loop: Header=BB2_221 Depth=2
	s_or_b64 exec, exec, s[16:17]
	s_waitcnt lgkmcnt(0)
	global_load_dwordx2 v[7:8], v45, s[8:9] offset:40
	global_load_dwordx4 v[0:3], v45, s[8:9]
	v_readfirstlane_b32 s17, v6
	v_readfirstlane_b32 s16, v5
	s_mov_b64 s[18:19], exec
	s_waitcnt vmcnt(1)
	v_readfirstlane_b32 s20, v7
	v_readfirstlane_b32 s21, v8
	s_and_b64 s[20:21], s[20:21], s[16:17]
	s_mul_i32 s22, s21, 24
	s_mul_hi_u32 s23, s20, 24
	s_mul_i32 s24, s20, 24
	s_add_i32 s22, s23, s22
	v_mov_b32_e32 v6, s22
	s_waitcnt vmcnt(0)
	v_add_co_u32_e32 v5, vcc, s24, v0
	v_addc_co_u32_e32 v6, vcc, v1, v6, vcc
	s_and_saveexec_b64 s[22:23], s[4:5]
	s_cbranch_execz .LBB2_335
; %bb.334:                              ;   in Loop: Header=BB2_221 Depth=2
	v_mov_b32_e32 v52, s19
	v_mov_b32_e32 v51, s18
	global_store_dwordx4 v[5:6], v[51:54], off offset:8
.LBB2_335:                              ;   in Loop: Header=BB2_221 Depth=2
	s_or_b64 exec, exec, s[22:23]
	s_lshl_b64 s[18:19], s[20:21], 12
	v_mov_b32_e32 v7, s19
	v_add_co_u32_e32 v9, vcc, s18, v2
	v_addc_co_u32_e32 v10, vcc, v3, v7, vcc
	s_mov_b32 s53, s52
	s_mov_b32 s54, s52
	;; [unrolled: 1-line block ×3, first 2 shown]
	v_mov_b32_e32 v11, s52
	v_lshlrev_b32_e32 v30, 6, v58
	v_mov_b32_e32 v44, v45
	v_mov_b32_e32 v46, v45
	v_readfirstlane_b32 s18, v9
	v_readfirstlane_b32 s19, v10
	v_mov_b32_e32 v12, s53
	v_mov_b32_e32 v13, s54
	v_mov_b32_e32 v14, s55
	s_nop 1
	global_store_dwordx4 v30, v[43:46], s[18:19]
	global_store_dwordx4 v30, v[11:14], s[18:19] offset:16
	global_store_dwordx4 v30, v[11:14], s[18:19] offset:32
	;; [unrolled: 1-line block ×3, first 2 shown]
	s_and_saveexec_b64 s[18:19], s[4:5]
	s_cbranch_execz .LBB2_343
; %bb.336:                              ;   in Loop: Header=BB2_221 Depth=2
	global_load_dwordx2 v[13:14], v45, s[8:9] offset:32 glc
	global_load_dwordx2 v[2:3], v45, s[8:9] offset:40
	v_mov_b32_e32 v11, s16
	v_mov_b32_e32 v12, s17
	s_waitcnt vmcnt(0)
	v_and_b32_e32 v2, s16, v2
	v_and_b32_e32 v3, s17, v3
	v_mul_lo_u32 v3, v3, 24
	v_mul_hi_u32 v7, v2, 24
	v_mul_lo_u32 v2, v2, 24
	v_add_u32_e32 v3, v7, v3
	v_add_co_u32_e32 v7, vcc, v0, v2
	v_addc_co_u32_e32 v8, vcc, v1, v3, vcc
	global_store_dwordx2 v[7:8], v[13:14], off
	s_waitcnt vmcnt(0)
	global_atomic_cmpswap_x2 v[2:3], v45, v[11:14], s[8:9] offset:32 glc
	s_waitcnt vmcnt(0)
	v_cmp_ne_u64_e32 vcc, v[2:3], v[13:14]
	s_and_saveexec_b64 s[20:21], vcc
	s_cbranch_execz .LBB2_339
; %bb.337:                              ;   in Loop: Header=BB2_221 Depth=2
	s_mov_b64 s[22:23], 0
.LBB2_338:                              ;   Parent Loop BB2_13 Depth=1
                                        ;     Parent Loop BB2_221 Depth=2
                                        ; =>    This Inner Loop Header: Depth=3
	s_sleep 1
	global_store_dwordx2 v[7:8], v[2:3], off
	v_mov_b32_e32 v0, s16
	v_mov_b32_e32 v1, s17
	s_waitcnt vmcnt(0)
	global_atomic_cmpswap_x2 v[0:1], v45, v[0:3], s[8:9] offset:32 glc
	s_waitcnt vmcnt(0)
	v_cmp_eq_u64_e32 vcc, v[0:1], v[2:3]
	v_mov_b32_e32 v3, v1
	s_or_b64 s[22:23], vcc, s[22:23]
	v_mov_b32_e32 v2, v0
	s_andn2_b64 exec, exec, s[22:23]
	s_cbranch_execnz .LBB2_338
.LBB2_339:                              ;   in Loop: Header=BB2_221 Depth=2
	s_or_b64 exec, exec, s[20:21]
	global_load_dwordx2 v[0:1], v45, s[8:9] offset:16
	s_mov_b64 s[22:23], exec
	v_mbcnt_lo_u32_b32 v2, s22, 0
	v_mbcnt_hi_u32_b32 v2, s23, v2
	v_cmp_eq_u32_e32 vcc, 0, v2
	s_and_saveexec_b64 s[20:21], vcc
	s_cbranch_execz .LBB2_341
; %bb.340:                              ;   in Loop: Header=BB2_221 Depth=2
	s_bcnt1_i32_b64 s22, s[22:23]
	v_mov_b32_e32 v44, s22
	s_waitcnt vmcnt(0)
	global_atomic_add_x2 v[0:1], v[44:45], off offset:8
.LBB2_341:                              ;   in Loop: Header=BB2_221 Depth=2
	s_or_b64 exec, exec, s[20:21]
	s_waitcnt vmcnt(0)
	global_load_dwordx2 v[2:3], v[0:1], off offset:16
	s_waitcnt vmcnt(0)
	v_cmp_eq_u64_e32 vcc, 0, v[2:3]
	s_cbranch_vccnz .LBB2_343
; %bb.342:                              ;   in Loop: Header=BB2_221 Depth=2
	global_load_dword v44, v[0:1], off offset:24
	s_waitcnt vmcnt(0)
	v_readfirstlane_b32 s20, v44
	s_and_b32 m0, s20, 0xffffff
	global_store_dwordx2 v[2:3], v[44:45], off
	s_sendmsg sendmsg(MSG_INTERRUPT)
.LBB2_343:                              ;   in Loop: Header=BB2_221 Depth=2
	s_or_b64 exec, exec, s[18:19]
	v_add_co_u32_e32 v0, vcc, v9, v30
	v_addc_co_u32_e32 v1, vcc, 0, v10, vcc
	s_branch .LBB2_347
.LBB2_344:                              ;   in Loop: Header=BB2_347 Depth=3
	s_or_b64 exec, exec, s[18:19]
	v_readfirstlane_b32 s18, v2
	s_cmp_eq_u32 s18, 0
	s_cbranch_scc1 .LBB2_346
; %bb.345:                              ;   in Loop: Header=BB2_347 Depth=3
	s_sleep 1
	s_cbranch_execnz .LBB2_347
	s_branch .LBB2_421
.LBB2_346:                              ;   in Loop: Header=BB2_221 Depth=2
	s_branch .LBB2_421
.LBB2_347:                              ;   Parent Loop BB2_13 Depth=1
                                        ;     Parent Loop BB2_221 Depth=2
                                        ; =>    This Inner Loop Header: Depth=3
	v_mov_b32_e32 v2, 1
	s_and_saveexec_b64 s[18:19], s[4:5]
	s_cbranch_execz .LBB2_344
; %bb.348:                              ;   in Loop: Header=BB2_347 Depth=3
	global_load_dword v2, v[5:6], off offset:20 glc
	s_waitcnt vmcnt(0)
	buffer_wbinvl1_vol
	v_and_b32_e32 v2, 1, v2
	s_branch .LBB2_344
.LBB2_349:                              ;   in Loop: Header=BB2_221 Depth=2
	v_cmp_gt_u32_e64 s[4:5], v13, v16
	s_andn2_saveexec_b64 s[6:7], s[6:7]
	s_cbranch_execz .LBB2_280
.LBB2_350:                              ;   in Loop: Header=BB2_221 Depth=2
	v_cmp_ne_u32_e32 vcc, v5, v6
                                        ; implicit-def: $sgpr8_sgpr9
	s_and_saveexec_b64 s[16:17], vcc
	s_xor_b64 s[16:17], exec, s[16:17]
; %bb.351:                              ;   in Loop: Header=BB2_221 Depth=2
	v_cmp_gt_u32_e64 s[8:9], v5, v6
; %bb.352:                              ;   in Loop: Header=BB2_221 Depth=2
	s_andn2_saveexec_b64 s[16:17], s[16:17]
; %bb.353:                              ;   in Loop: Header=BB2_221 Depth=2
	v_cmp_ge_u32_e32 vcc, v0, v1
	s_andn2_b64 s[8:9], s[8:9], exec
	s_and_b64 s[18:19], vcc, exec
	s_or_b64 s[8:9], s[8:9], s[18:19]
; %bb.354:                              ;   in Loop: Header=BB2_221 Depth=2
	s_or_b64 exec, exec, s[16:17]
	s_andn2_b64 s[4:5], s[4:5], exec
	s_and_b64 s[8:9], s[8:9], exec
	s_or_b64 s[4:5], s[4:5], s[8:9]
	s_or_b64 exec, exec, s[6:7]
	s_and_saveexec_b64 s[6:7], s[4:5]
	s_cbranch_execnz .LBB2_281
	s_branch .LBB2_282
.LBB2_355:                              ;   in Loop: Header=BB2_221 Depth=2
	v_cmp_gt_u32_e64 s[4:5], v13, v15
	s_andn2_saveexec_b64 s[6:7], s[6:7]
	s_cbranch_execz .LBB2_284
.LBB2_356:                              ;   in Loop: Header=BB2_221 Depth=2
	buffer_load_dword v0, off, s[0:3], 0 offset:4
                                        ; implicit-def: $sgpr8_sgpr9
	s_waitcnt vmcnt(0)
	v_cmp_ne_u32_e32 vcc, v0, v7
	s_and_saveexec_b64 s[16:17], vcc
	s_xor_b64 s[16:17], exec, s[16:17]
; %bb.357:                              ;   in Loop: Header=BB2_221 Depth=2
	v_cmp_gt_u32_e64 s[8:9], v0, v7
; %bb.358:                              ;   in Loop: Header=BB2_221 Depth=2
	s_andn2_saveexec_b64 s[16:17], s[16:17]
	s_cbranch_execz .LBB2_360
; %bb.359:                              ;   in Loop: Header=BB2_221 Depth=2
	buffer_load_dword v0, off, s[0:3], 0 offset:8
	s_andn2_b64 s[8:9], s[8:9], exec
	s_waitcnt vmcnt(0)
	v_cmp_ge_u32_e32 vcc, v0, v2
	s_and_b64 s[18:19], vcc, exec
	s_or_b64 s[8:9], s[8:9], s[18:19]
.LBB2_360:                              ;   in Loop: Header=BB2_221 Depth=2
	s_or_b64 exec, exec, s[16:17]
	s_andn2_b64 s[4:5], s[4:5], exec
	s_and_b64 s[8:9], s[8:9], exec
	s_or_b64 s[4:5], s[4:5], s[8:9]
	s_or_b64 exec, exec, s[6:7]
	s_and_saveexec_b64 s[6:7], s[4:5]
	s_cbranch_execnz .LBB2_285
	s_branch .LBB2_286
.LBB2_361:                              ;   in Loop: Header=BB2_221 Depth=2
	v_cmp_gt_u32_e64 s[4:5], v13, v14
                                        ; implicit-def: $vgpr0_vgpr1_vgpr2_vgpr3
                                        ; implicit-def: $vgpr5_vgpr6_vgpr7_vgpr8
	s_andn2_saveexec_b64 s[6:7], s[6:7]
	s_cbranch_execz .LBB2_288
.LBB2_362:                              ;   in Loop: Header=BB2_221 Depth=2
	buffer_load_dword v0, off, s[0:3], 0 offset:4
                                        ; implicit-def: $sgpr8_sgpr9
	s_waitcnt vmcnt(0)
	v_cmp_ne_u32_e32 vcc, v0, v8
	s_and_saveexec_b64 s[16:17], vcc
	s_xor_b64 s[16:17], exec, s[16:17]
; %bb.363:                              ;   in Loop: Header=BB2_221 Depth=2
	v_cmp_gt_u32_e64 s[8:9], v0, v8
                                        ; implicit-def: $vgpr0_vgpr1_vgpr2_vgpr3
; %bb.364:                              ;   in Loop: Header=BB2_221 Depth=2
	s_andn2_saveexec_b64 s[16:17], s[16:17]
	s_cbranch_execz .LBB2_366
; %bb.365:                              ;   in Loop: Header=BB2_221 Depth=2
	buffer_load_dword v0, off, s[0:3], 0 offset:8
	s_andn2_b64 s[8:9], s[8:9], exec
	s_waitcnt vmcnt(0)
	v_cmp_ge_u32_e32 vcc, v0, v3
	s_and_b64 s[18:19], vcc, exec
	s_or_b64 s[8:9], s[8:9], s[18:19]
.LBB2_366:                              ;   in Loop: Header=BB2_221 Depth=2
	s_or_b64 exec, exec, s[16:17]
	s_andn2_b64 s[4:5], s[4:5], exec
	s_and_b64 s[8:9], s[8:9], exec
	s_or_b64 s[4:5], s[4:5], s[8:9]
	s_or_b64 exec, exec, s[6:7]
	s_and_saveexec_b64 s[6:7], s[4:5]
	s_cbranch_execnz .LBB2_289
	s_branch .LBB2_290
.LBB2_367:                              ;   in Loop: Header=BB2_221 Depth=2
	v_cmp_gt_u32_e64 s[4:5], v0, v13
	s_andn2_saveexec_b64 s[6:7], s[6:7]
	s_cbranch_execz .LBB2_292
.LBB2_368:                              ;   in Loop: Header=BB2_221 Depth=2
	buffer_load_dword v1, off, s[0:3], 0 offset:4
	buffer_load_dword v2, off, s[0:3], 0 offset:20
                                        ; implicit-def: $sgpr8_sgpr9
	s_waitcnt vmcnt(0)
	v_cmp_ne_u32_e32 vcc, v2, v1
	s_and_saveexec_b64 s[16:17], vcc
	s_xor_b64 s[16:17], exec, s[16:17]
; %bb.369:                              ;   in Loop: Header=BB2_221 Depth=2
	v_cmp_gt_u32_e64 s[8:9], v2, v1
; %bb.370:                              ;   in Loop: Header=BB2_221 Depth=2
	s_andn2_saveexec_b64 s[16:17], s[16:17]
	s_cbranch_execz .LBB2_372
; %bb.371:                              ;   in Loop: Header=BB2_221 Depth=2
	buffer_load_dword v1, off, s[0:3], 0 offset:8
	buffer_load_dword v2, off, s[0:3], 0 offset:24
	s_andn2_b64 s[8:9], s[8:9], exec
	s_waitcnt vmcnt(0)
	v_cmp_ge_u32_e32 vcc, v2, v1
	s_and_b64 s[18:19], vcc, exec
	s_or_b64 s[8:9], s[8:9], s[18:19]
.LBB2_372:                              ;   in Loop: Header=BB2_221 Depth=2
	s_or_b64 exec, exec, s[16:17]
	s_andn2_b64 s[4:5], s[4:5], exec
	s_and_b64 s[8:9], s[8:9], exec
	s_or_b64 s[4:5], s[4:5], s[8:9]
	s_or_b64 exec, exec, s[6:7]
	s_and_saveexec_b64 s[6:7], s[4:5]
	s_cbranch_execnz .LBB2_293
	s_branch .LBB2_294
.LBB2_373:                              ;   in Loop: Header=BB2_221 Depth=2
	v_cmp_gt_u32_e64 s[4:5], v0, v1
	s_andn2_saveexec_b64 s[6:7], s[6:7]
	s_cbranch_execz .LBB2_296
.LBB2_374:                              ;   in Loop: Header=BB2_221 Depth=2
	buffer_load_dword v1, off, s[0:3], 0 offset:20
	buffer_load_dword v2, off, s[0:3], 0 offset:36
                                        ; implicit-def: $sgpr8_sgpr9
	s_waitcnt vmcnt(0)
	v_cmp_ne_u32_e32 vcc, v1, v2
	s_and_saveexec_b64 s[16:17], vcc
	s_xor_b64 s[16:17], exec, s[16:17]
; %bb.375:                              ;   in Loop: Header=BB2_221 Depth=2
	v_cmp_gt_u32_e64 s[8:9], v1, v2
; %bb.376:                              ;   in Loop: Header=BB2_221 Depth=2
	s_andn2_saveexec_b64 s[16:17], s[16:17]
	s_cbranch_execz .LBB2_378
; %bb.377:                              ;   in Loop: Header=BB2_221 Depth=2
	buffer_load_dword v1, off, s[0:3], 0 offset:24
	buffer_load_dword v2, off, s[0:3], 0 offset:40
	s_andn2_b64 s[8:9], s[8:9], exec
	s_waitcnt vmcnt(0)
	v_cmp_ge_u32_e32 vcc, v1, v2
	s_and_b64 s[18:19], vcc, exec
	s_or_b64 s[8:9], s[8:9], s[18:19]
.LBB2_378:                              ;   in Loop: Header=BB2_221 Depth=2
	s_or_b64 exec, exec, s[16:17]
	s_andn2_b64 s[4:5], s[4:5], exec
	s_and_b64 s[8:9], s[8:9], exec
	s_or_b64 s[4:5], s[4:5], s[8:9]
	s_or_b64 exec, exec, s[6:7]
	s_and_saveexec_b64 s[6:7], s[4:5]
	s_cbranch_execnz .LBB2_297
	s_branch .LBB2_298
.LBB2_379:                              ;   in Loop: Header=BB2_221 Depth=2
	v_cmp_gt_u32_e64 s[4:5], v0, v1
	s_andn2_saveexec_b64 s[6:7], s[6:7]
	s_cbranch_execz .LBB2_300
.LBB2_380:                              ;   in Loop: Header=BB2_221 Depth=2
	buffer_load_dword v0, off, s[0:3], 0 offset:20
	buffer_load_dword v1, off, s[0:3], 0 offset:52
                                        ; implicit-def: $sgpr8_sgpr9
	s_waitcnt vmcnt(0)
	v_cmp_ne_u32_e32 vcc, v0, v1
	s_and_saveexec_b64 s[16:17], vcc
	s_xor_b64 s[16:17], exec, s[16:17]
; %bb.381:                              ;   in Loop: Header=BB2_221 Depth=2
	v_cmp_gt_u32_e64 s[8:9], v0, v1
; %bb.382:                              ;   in Loop: Header=BB2_221 Depth=2
	s_andn2_saveexec_b64 s[16:17], s[16:17]
	s_cbranch_execz .LBB2_384
; %bb.383:                              ;   in Loop: Header=BB2_221 Depth=2
	buffer_load_dword v0, off, s[0:3], 0 offset:24
	buffer_load_dword v1, off, s[0:3], 0 offset:56
	s_andn2_b64 s[8:9], s[8:9], exec
	s_waitcnt vmcnt(0)
	v_cmp_ge_u32_e32 vcc, v0, v1
	s_and_b64 s[18:19], vcc, exec
	s_or_b64 s[8:9], s[8:9], s[18:19]
.LBB2_384:                              ;   in Loop: Header=BB2_221 Depth=2
	s_or_b64 exec, exec, s[16:17]
	s_andn2_b64 s[4:5], s[4:5], exec
	s_and_b64 s[8:9], s[8:9], exec
	s_or_b64 s[4:5], s[4:5], s[8:9]
	s_or_b64 exec, exec, s[6:7]
	s_and_saveexec_b64 s[6:7], s[4:5]
	s_cbranch_execnz .LBB2_301
	s_branch .LBB2_302
.LBB2_385:                              ;   in Loop: Header=BB2_221 Depth=2
	v_cmp_gt_u32_e64 s[4:5], v1, v0
	s_andn2_saveexec_b64 s[6:7], s[6:7]
	s_cbranch_execz .LBB2_304
.LBB2_386:                              ;   in Loop: Header=BB2_221 Depth=2
	buffer_load_dword v0, off, s[0:3], 0 offset:4
	buffer_load_dword v2, off, s[0:3], 0 offset:36
                                        ; implicit-def: $sgpr8_sgpr9
	s_waitcnt vmcnt(0)
	v_cmp_ne_u32_e32 vcc, v2, v0
	s_and_saveexec_b64 s[16:17], vcc
	s_xor_b64 s[16:17], exec, s[16:17]
; %bb.387:                              ;   in Loop: Header=BB2_221 Depth=2
	v_cmp_gt_u32_e64 s[8:9], v2, v0
; %bb.388:                              ;   in Loop: Header=BB2_221 Depth=2
	s_andn2_saveexec_b64 s[16:17], s[16:17]
	s_cbranch_execz .LBB2_390
; %bb.389:                              ;   in Loop: Header=BB2_221 Depth=2
	buffer_load_dword v0, off, s[0:3], 0 offset:8
	buffer_load_dword v2, off, s[0:3], 0 offset:40
	s_andn2_b64 s[8:9], s[8:9], exec
	s_waitcnt vmcnt(0)
	v_cmp_ge_u32_e32 vcc, v2, v0
	s_and_b64 s[18:19], vcc, exec
	s_or_b64 s[8:9], s[8:9], s[18:19]
.LBB2_390:                              ;   in Loop: Header=BB2_221 Depth=2
	s_or_b64 exec, exec, s[16:17]
	s_andn2_b64 s[4:5], s[4:5], exec
	s_and_b64 s[8:9], s[8:9], exec
	s_or_b64 s[4:5], s[4:5], s[8:9]
	s_or_b64 exec, exec, s[6:7]
	s_and_saveexec_b64 s[6:7], s[4:5]
	s_cbranch_execnz .LBB2_305
	s_branch .LBB2_306
.LBB2_391:                              ;   in Loop: Header=BB2_221 Depth=2
	v_cmp_gt_u32_e64 s[4:5], v1, v0
	s_andn2_saveexec_b64 s[6:7], s[6:7]
	s_cbranch_execz .LBB2_308
.LBB2_392:                              ;   in Loop: Header=BB2_221 Depth=2
	buffer_load_dword v0, off, s[0:3], 0 offset:20
	buffer_load_dword v2, off, s[0:3], 0 offset:36
                                        ; implicit-def: $sgpr8_sgpr9
	s_waitcnt vmcnt(0)
	v_cmp_ne_u32_e32 vcc, v2, v0
	s_and_saveexec_b64 s[16:17], vcc
	s_xor_b64 s[16:17], exec, s[16:17]
; %bb.393:                              ;   in Loop: Header=BB2_221 Depth=2
	v_cmp_gt_u32_e64 s[8:9], v2, v0
; %bb.394:                              ;   in Loop: Header=BB2_221 Depth=2
	s_andn2_saveexec_b64 s[16:17], s[16:17]
	s_cbranch_execz .LBB2_396
; %bb.395:                              ;   in Loop: Header=BB2_221 Depth=2
	buffer_load_dword v0, off, s[0:3], 0 offset:24
	buffer_load_dword v2, off, s[0:3], 0 offset:40
	s_andn2_b64 s[8:9], s[8:9], exec
	s_waitcnt vmcnt(0)
	v_cmp_ge_u32_e32 vcc, v2, v0
	s_and_b64 s[18:19], vcc, exec
	s_or_b64 s[8:9], s[8:9], s[18:19]
.LBB2_396:                              ;   in Loop: Header=BB2_221 Depth=2
	s_or_b64 exec, exec, s[16:17]
	s_andn2_b64 s[4:5], s[4:5], exec
	s_and_b64 s[8:9], s[8:9], exec
	s_or_b64 s[4:5], s[4:5], s[8:9]
	s_or_b64 exec, exec, s[6:7]
	s_and_saveexec_b64 s[6:7], s[4:5]
	s_cbranch_execnz .LBB2_309
	s_branch .LBB2_310
.LBB2_397:                              ;   in Loop: Header=BB2_221 Depth=2
	v_cmp_gt_u32_e64 s[4:5], v1, v0
	s_andn2_saveexec_b64 s[6:7], s[6:7]
	s_cbranch_execz .LBB2_312
.LBB2_398:                              ;   in Loop: Header=BB2_221 Depth=2
	buffer_load_dword v1, off, s[0:3], 0 offset:36
	buffer_load_dword v2, off, s[0:3], 0 offset:52
                                        ; implicit-def: $sgpr8_sgpr9
	s_waitcnt vmcnt(0)
	v_cmp_ne_u32_e32 vcc, v1, v2
	s_and_saveexec_b64 s[16:17], vcc
	s_xor_b64 s[16:17], exec, s[16:17]
; %bb.399:                              ;   in Loop: Header=BB2_221 Depth=2
	v_cmp_gt_u32_e64 s[8:9], v1, v2
; %bb.400:                              ;   in Loop: Header=BB2_221 Depth=2
	s_andn2_saveexec_b64 s[16:17], s[16:17]
	s_cbranch_execz .LBB2_402
; %bb.401:                              ;   in Loop: Header=BB2_221 Depth=2
	buffer_load_dword v1, off, s[0:3], 0 offset:40
	buffer_load_dword v2, off, s[0:3], 0 offset:56
	s_andn2_b64 s[8:9], s[8:9], exec
	s_waitcnt vmcnt(0)
	v_cmp_ge_u32_e32 vcc, v1, v2
	s_and_b64 s[18:19], vcc, exec
	s_or_b64 s[8:9], s[8:9], s[18:19]
.LBB2_402:                              ;   in Loop: Header=BB2_221 Depth=2
	s_or_b64 exec, exec, s[16:17]
	s_andn2_b64 s[4:5], s[4:5], exec
	s_and_b64 s[8:9], s[8:9], exec
	s_or_b64 s[4:5], s[4:5], s[8:9]
	s_or_b64 exec, exec, s[6:7]
	s_and_saveexec_b64 s[6:7], s[4:5]
	s_cbranch_execnz .LBB2_313
	s_branch .LBB2_314
.LBB2_403:                              ;   in Loop: Header=BB2_221 Depth=2
	v_cmp_gt_u32_e64 s[4:5], v0, v1
	s_andn2_saveexec_b64 s[6:7], s[6:7]
	s_cbranch_execz .LBB2_316
.LBB2_404:                              ;   in Loop: Header=BB2_221 Depth=2
	buffer_load_dword v1, off, s[0:3], 0 offset:4
	buffer_load_dword v2, off, s[0:3], 0 offset:52
                                        ; implicit-def: $sgpr8_sgpr9
	s_waitcnt vmcnt(0)
	v_cmp_ne_u32_e32 vcc, v2, v1
	s_and_saveexec_b64 s[16:17], vcc
	s_xor_b64 s[16:17], exec, s[16:17]
; %bb.405:                              ;   in Loop: Header=BB2_221 Depth=2
	v_cmp_gt_u32_e64 s[8:9], v2, v1
; %bb.406:                              ;   in Loop: Header=BB2_221 Depth=2
	s_andn2_saveexec_b64 s[16:17], s[16:17]
	s_cbranch_execz .LBB2_408
; %bb.407:                              ;   in Loop: Header=BB2_221 Depth=2
	buffer_load_dword v1, off, s[0:3], 0 offset:8
	buffer_load_dword v2, off, s[0:3], 0 offset:56
	s_andn2_b64 s[8:9], s[8:9], exec
	s_waitcnt vmcnt(0)
	v_cmp_ge_u32_e32 vcc, v2, v1
	s_and_b64 s[18:19], vcc, exec
	s_or_b64 s[8:9], s[8:9], s[18:19]
.LBB2_408:                              ;   in Loop: Header=BB2_221 Depth=2
	s_or_b64 exec, exec, s[16:17]
	s_andn2_b64 s[4:5], s[4:5], exec
	s_and_b64 s[8:9], s[8:9], exec
	s_or_b64 s[4:5], s[4:5], s[8:9]
	s_or_b64 exec, exec, s[6:7]
	s_and_saveexec_b64 s[6:7], s[4:5]
	s_cbranch_execnz .LBB2_317
	s_branch .LBB2_318
.LBB2_409:                              ;   in Loop: Header=BB2_221 Depth=2
	v_cmp_gt_u32_e64 s[4:5], v0, v1
	s_andn2_saveexec_b64 s[6:7], s[6:7]
	s_cbranch_execz .LBB2_320
.LBB2_410:                              ;   in Loop: Header=BB2_221 Depth=2
	buffer_load_dword v1, off, s[0:3], 0 offset:20
	buffer_load_dword v2, off, s[0:3], 0 offset:52
                                        ; implicit-def: $sgpr8_sgpr9
	s_waitcnt vmcnt(0)
	v_cmp_ne_u32_e32 vcc, v2, v1
	s_and_saveexec_b64 s[16:17], vcc
	s_xor_b64 s[16:17], exec, s[16:17]
; %bb.411:                              ;   in Loop: Header=BB2_221 Depth=2
	v_cmp_gt_u32_e64 s[8:9], v2, v1
; %bb.412:                              ;   in Loop: Header=BB2_221 Depth=2
	s_andn2_saveexec_b64 s[16:17], s[16:17]
	s_cbranch_execz .LBB2_414
; %bb.413:                              ;   in Loop: Header=BB2_221 Depth=2
	buffer_load_dword v1, off, s[0:3], 0 offset:24
	buffer_load_dword v2, off, s[0:3], 0 offset:56
	s_andn2_b64 s[8:9], s[8:9], exec
	s_waitcnt vmcnt(0)
	v_cmp_ge_u32_e32 vcc, v2, v1
	s_and_b64 s[18:19], vcc, exec
	s_or_b64 s[8:9], s[8:9], s[18:19]
.LBB2_414:                              ;   in Loop: Header=BB2_221 Depth=2
	s_or_b64 exec, exec, s[16:17]
	s_andn2_b64 s[4:5], s[4:5], exec
	s_and_b64 s[8:9], s[8:9], exec
	s_or_b64 s[4:5], s[4:5], s[8:9]
	s_or_b64 exec, exec, s[6:7]
	s_and_saveexec_b64 s[6:7], s[4:5]
	s_cbranch_execnz .LBB2_321
	s_branch .LBB2_322
.LBB2_415:                              ;   in Loop: Header=BB2_221 Depth=2
	v_cmp_gt_u32_e64 s[4:5], v0, v1
	s_andn2_saveexec_b64 s[6:7], s[6:7]
	s_cbranch_execz .LBB2_324
.LBB2_416:                              ;   in Loop: Header=BB2_221 Depth=2
	buffer_load_dword v0, off, s[0:3], 0 offset:36
	buffer_load_dword v1, off, s[0:3], 0 offset:52
                                        ; implicit-def: $sgpr8_sgpr9
	s_waitcnt vmcnt(0)
	v_cmp_ne_u32_e32 vcc, v1, v0
	s_and_saveexec_b64 s[16:17], vcc
	s_xor_b64 s[16:17], exec, s[16:17]
; %bb.417:                              ;   in Loop: Header=BB2_221 Depth=2
	v_cmp_gt_u32_e64 s[8:9], v1, v0
; %bb.418:                              ;   in Loop: Header=BB2_221 Depth=2
	s_andn2_saveexec_b64 s[16:17], s[16:17]
	s_cbranch_execz .LBB2_420
; %bb.419:                              ;   in Loop: Header=BB2_221 Depth=2
	buffer_load_dword v0, off, s[0:3], 0 offset:40
	buffer_load_dword v1, off, s[0:3], 0 offset:56
	s_andn2_b64 s[8:9], s[8:9], exec
	s_waitcnt vmcnt(0)
	v_cmp_ge_u32_e32 vcc, v1, v0
	s_and_b64 s[18:19], vcc, exec
	s_or_b64 s[8:9], s[8:9], s[18:19]
.LBB2_420:                              ;   in Loop: Header=BB2_221 Depth=2
	s_or_b64 exec, exec, s[16:17]
	s_andn2_b64 s[4:5], s[4:5], exec
	s_and_b64 s[8:9], s[8:9], exec
	s_or_b64 s[4:5], s[4:5], s[8:9]
	s_or_b64 exec, exec, s[6:7]
	s_and_saveexec_b64 s[6:7], s[4:5]
	s_cbranch_execnz .LBB2_325
	s_branch .LBB2_326
.LBB2_421:                              ;   in Loop: Header=BB2_221 Depth=2
	global_load_dwordx2 v[0:1], v[0:1], off
	s_and_saveexec_b64 s[18:19], s[4:5]
	s_cbranch_execz .LBB2_425
; %bb.422:                              ;   in Loop: Header=BB2_221 Depth=2
	global_load_dwordx2 v[2:3], v45, s[8:9] offset:40
	global_load_dwordx2 v[9:10], v45, s[8:9] offset:24 glc
	global_load_dwordx2 v[5:6], v45, s[8:9]
	s_waitcnt vmcnt(2)
	v_readfirstlane_b32 s20, v2
	v_readfirstlane_b32 s21, v3
	s_add_u32 s22, s20, 1
	s_addc_u32 s23, s21, 0
	s_add_u32 s4, s22, s16
	s_addc_u32 s5, s23, s17
	s_cmp_eq_u64 s[4:5], 0
	s_cselect_b32 s5, s23, s5
	s_cselect_b32 s4, s22, s4
	s_and_b64 s[16:17], s[4:5], s[20:21]
	s_mul_i32 s17, s17, 24
	s_mul_hi_u32 s20, s16, 24
	s_mul_i32 s16, s16, 24
	s_add_i32 s17, s20, s17
	v_mov_b32_e32 v3, s17
	s_waitcnt vmcnt(0)
	v_add_co_u32_e32 v2, vcc, s16, v5
	v_addc_co_u32_e32 v3, vcc, v6, v3, vcc
	v_mov_b32_e32 v7, s4
	global_store_dwordx2 v[2:3], v[9:10], off
	v_mov_b32_e32 v8, s5
	s_waitcnt vmcnt(0)
	global_atomic_cmpswap_x2 v[7:8], v45, v[7:10], s[8:9] offset:24 glc
	s_waitcnt vmcnt(0)
	v_cmp_ne_u64_e32 vcc, v[7:8], v[9:10]
	s_and_b64 exec, exec, vcc
	s_cbranch_execz .LBB2_425
; %bb.423:                              ;   in Loop: Header=BB2_221 Depth=2
	s_mov_b64 s[16:17], 0
.LBB2_424:                              ;   Parent Loop BB2_13 Depth=1
                                        ;     Parent Loop BB2_221 Depth=2
                                        ; =>    This Inner Loop Header: Depth=3
	s_sleep 1
	global_store_dwordx2 v[2:3], v[7:8], off
	v_mov_b32_e32 v5, s4
	v_mov_b32_e32 v6, s5
	s_waitcnt vmcnt(0)
	global_atomic_cmpswap_x2 v[5:6], v45, v[5:8], s[8:9] offset:24 glc
	s_waitcnt vmcnt(0)
	v_cmp_eq_u64_e32 vcc, v[5:6], v[7:8]
	v_mov_b32_e32 v8, v6
	s_or_b64 s[16:17], vcc, s[16:17]
	v_mov_b32_e32 v7, v5
	s_andn2_b64 exec, exec, s[16:17]
	s_cbranch_execnz .LBB2_424
.LBB2_425:                              ;   in Loop: Header=BB2_221 Depth=2
	s_or_b64 exec, exec, s[18:19]
	s_and_b64 vcc, exec, s[72:73]
	s_cbranch_vccz .LBB2_511
; %bb.426:                              ;   in Loop: Header=BB2_221 Depth=2
	s_waitcnt vmcnt(0)
	v_and_b32_e32 v5, -3, v0
	v_mov_b32_e32 v6, v1
	s_mov_b64 s[18:19], 53
	s_getpc_b64 s[16:17]
	s_add_u32 s16, s16, .str.4@rel32@lo+4
	s_addc_u32 s17, s17, .str.4@rel32@hi+12
	s_branch .LBB2_428
.LBB2_427:                              ;   in Loop: Header=BB2_428 Depth=3
	s_or_b64 exec, exec, s[24:25]
	s_sub_u32 s18, s18, s20
	s_subb_u32 s19, s19, s21
	s_add_u32 s16, s16, s20
	s_addc_u32 s17, s17, s21
	s_cmp_lg_u64 s[18:19], 0
	s_cbranch_scc0 .LBB2_510
.LBB2_428:                              ;   Parent Loop BB2_13 Depth=1
                                        ;     Parent Loop BB2_221 Depth=2
                                        ; =>    This Loop Header: Depth=3
                                        ;         Child Loop BB2_431 Depth 4
                                        ;         Child Loop BB2_439 Depth 4
	;; [unrolled: 1-line block ×11, first 2 shown]
	v_cmp_lt_u64_e64 s[4:5], s[18:19], 56
	v_cmp_gt_u64_e64 s[22:23], s[18:19], 7
	s_and_b64 s[4:5], s[4:5], exec
	s_cselect_b32 s21, s19, 0
	s_cselect_b32 s20, s18, 56
	s_add_u32 s4, s16, 8
	s_addc_u32 s5, s17, 0
	s_and_b64 vcc, exec, s[22:23]
	s_cbranch_vccnz .LBB2_432
; %bb.429:                              ;   in Loop: Header=BB2_428 Depth=3
	s_cmp_eq_u64 s[18:19], 0
	s_cbranch_scc1 .LBB2_433
; %bb.430:                              ;   in Loop: Header=BB2_428 Depth=3
	s_waitcnt vmcnt(0)
	v_mov_b32_e32 v7, 0
	s_lshl_b64 s[4:5], s[20:21], 3
	s_mov_b64 s[22:23], 0
	v_mov_b32_e32 v8, 0
	s_mov_b64 s[24:25], s[16:17]
.LBB2_431:                              ;   Parent Loop BB2_13 Depth=1
                                        ;     Parent Loop BB2_221 Depth=2
                                        ;       Parent Loop BB2_428 Depth=3
                                        ; =>      This Inner Loop Header: Depth=4
	global_load_ubyte v2, v45, s[24:25]
	s_waitcnt vmcnt(0)
	v_and_b32_e32 v44, 0xffff, v2
	v_lshlrev_b64 v[2:3], s22, v[44:45]
	s_add_u32 s22, s22, 8
	s_addc_u32 s23, s23, 0
	s_add_u32 s24, s24, 1
	s_addc_u32 s25, s25, 0
	v_or_b32_e32 v7, v2, v7
	s_cmp_lg_u32 s4, s22
	v_or_b32_e32 v8, v3, v8
	s_cbranch_scc1 .LBB2_431
	s_branch .LBB2_434
.LBB2_432:                              ;   in Loop: Header=BB2_428 Depth=3
	s_mov_b32 s26, 0
	s_branch .LBB2_435
.LBB2_433:                              ;   in Loop: Header=BB2_428 Depth=3
	s_waitcnt vmcnt(0)
	v_mov_b32_e32 v7, 0
	v_mov_b32_e32 v8, 0
.LBB2_434:                              ;   in Loop: Header=BB2_428 Depth=3
	s_mov_b64 s[4:5], s[16:17]
	s_mov_b32 s26, 0
	s_cbranch_execnz .LBB2_436
.LBB2_435:                              ;   in Loop: Header=BB2_428 Depth=3
	global_load_dwordx2 v[7:8], v45, s[16:17]
	s_add_i32 s26, s20, -8
.LBB2_436:                              ;   in Loop: Header=BB2_428 Depth=3
	s_add_u32 s22, s4, 8
	s_addc_u32 s23, s5, 0
	s_cmp_gt_u32 s26, 7
	s_cbranch_scc1 .LBB2_440
; %bb.437:                              ;   in Loop: Header=BB2_428 Depth=3
	s_cmp_eq_u32 s26, 0
	s_cbranch_scc1 .LBB2_441
; %bb.438:                              ;   in Loop: Header=BB2_428 Depth=3
	v_mov_b32_e32 v9, 0
	s_mov_b64 s[22:23], 0
	v_mov_b32_e32 v10, 0
	s_mov_b64 s[24:25], 0
.LBB2_439:                              ;   Parent Loop BB2_13 Depth=1
                                        ;     Parent Loop BB2_221 Depth=2
                                        ;       Parent Loop BB2_428 Depth=3
                                        ; =>      This Inner Loop Header: Depth=4
	s_add_u32 s28, s4, s24
	s_addc_u32 s29, s5, s25
	global_load_ubyte v2, v45, s[28:29]
	s_add_u32 s24, s24, 1
	s_addc_u32 s25, s25, 0
	s_waitcnt vmcnt(0)
	v_and_b32_e32 v44, 0xffff, v2
	v_lshlrev_b64 v[2:3], s22, v[44:45]
	s_add_u32 s22, s22, 8
	s_addc_u32 s23, s23, 0
	v_or_b32_e32 v9, v2, v9
	s_cmp_lg_u32 s26, s24
	v_or_b32_e32 v10, v3, v10
	s_cbranch_scc1 .LBB2_439
	s_branch .LBB2_442
.LBB2_440:                              ;   in Loop: Header=BB2_428 Depth=3
                                        ; implicit-def: $vgpr9_vgpr10
	s_mov_b32 s27, 0
	s_branch .LBB2_443
.LBB2_441:                              ;   in Loop: Header=BB2_428 Depth=3
	v_mov_b32_e32 v9, 0
	v_mov_b32_e32 v10, 0
.LBB2_442:                              ;   in Loop: Header=BB2_428 Depth=3
	s_mov_b64 s[22:23], s[4:5]
	s_mov_b32 s27, 0
	s_cbranch_execnz .LBB2_444
.LBB2_443:                              ;   in Loop: Header=BB2_428 Depth=3
	global_load_dwordx2 v[9:10], v45, s[4:5]
	s_add_i32 s27, s26, -8
.LBB2_444:                              ;   in Loop: Header=BB2_428 Depth=3
	s_add_u32 s4, s22, 8
	s_addc_u32 s5, s23, 0
	s_cmp_gt_u32 s27, 7
	s_cbranch_scc1 .LBB2_448
; %bb.445:                              ;   in Loop: Header=BB2_428 Depth=3
	s_cmp_eq_u32 s27, 0
	s_cbranch_scc1 .LBB2_449
; %bb.446:                              ;   in Loop: Header=BB2_428 Depth=3
	v_mov_b32_e32 v11, 0
	s_mov_b64 s[4:5], 0
	v_mov_b32_e32 v12, 0
	s_mov_b64 s[24:25], 0
.LBB2_447:                              ;   Parent Loop BB2_13 Depth=1
                                        ;     Parent Loop BB2_221 Depth=2
                                        ;       Parent Loop BB2_428 Depth=3
                                        ; =>      This Inner Loop Header: Depth=4
	s_add_u32 s28, s22, s24
	s_addc_u32 s29, s23, s25
	global_load_ubyte v2, v45, s[28:29]
	s_add_u32 s24, s24, 1
	s_addc_u32 s25, s25, 0
	s_waitcnt vmcnt(0)
	v_and_b32_e32 v44, 0xffff, v2
	v_lshlrev_b64 v[2:3], s4, v[44:45]
	s_add_u32 s4, s4, 8
	s_addc_u32 s5, s5, 0
	v_or_b32_e32 v11, v2, v11
	s_cmp_lg_u32 s27, s24
	v_or_b32_e32 v12, v3, v12
	s_cbranch_scc1 .LBB2_447
	s_branch .LBB2_450
.LBB2_448:                              ;   in Loop: Header=BB2_428 Depth=3
	s_mov_b32 s26, 0
	s_branch .LBB2_451
.LBB2_449:                              ;   in Loop: Header=BB2_428 Depth=3
	v_mov_b32_e32 v11, 0
	v_mov_b32_e32 v12, 0
.LBB2_450:                              ;   in Loop: Header=BB2_428 Depth=3
	s_mov_b64 s[4:5], s[22:23]
	s_mov_b32 s26, 0
	s_cbranch_execnz .LBB2_452
.LBB2_451:                              ;   in Loop: Header=BB2_428 Depth=3
	global_load_dwordx2 v[11:12], v45, s[22:23]
	s_add_i32 s26, s27, -8
.LBB2_452:                              ;   in Loop: Header=BB2_428 Depth=3
	s_add_u32 s22, s4, 8
	s_addc_u32 s23, s5, 0
	s_cmp_gt_u32 s26, 7
	s_cbranch_scc1 .LBB2_456
; %bb.453:                              ;   in Loop: Header=BB2_428 Depth=3
	s_cmp_eq_u32 s26, 0
	s_cbranch_scc1 .LBB2_457
; %bb.454:                              ;   in Loop: Header=BB2_428 Depth=3
	v_mov_b32_e32 v13, 0
	s_mov_b64 s[22:23], 0
	v_mov_b32_e32 v14, 0
	s_mov_b64 s[24:25], 0
.LBB2_455:                              ;   Parent Loop BB2_13 Depth=1
                                        ;     Parent Loop BB2_221 Depth=2
                                        ;       Parent Loop BB2_428 Depth=3
                                        ; =>      This Inner Loop Header: Depth=4
	s_add_u32 s28, s4, s24
	s_addc_u32 s29, s5, s25
	global_load_ubyte v2, v45, s[28:29]
	s_add_u32 s24, s24, 1
	s_addc_u32 s25, s25, 0
	s_waitcnt vmcnt(0)
	v_and_b32_e32 v44, 0xffff, v2
	v_lshlrev_b64 v[2:3], s22, v[44:45]
	s_add_u32 s22, s22, 8
	s_addc_u32 s23, s23, 0
	v_or_b32_e32 v13, v2, v13
	s_cmp_lg_u32 s26, s24
	v_or_b32_e32 v14, v3, v14
	s_cbranch_scc1 .LBB2_455
	s_branch .LBB2_458
.LBB2_456:                              ;   in Loop: Header=BB2_428 Depth=3
                                        ; implicit-def: $vgpr13_vgpr14
	s_mov_b32 s27, 0
	s_branch .LBB2_459
.LBB2_457:                              ;   in Loop: Header=BB2_428 Depth=3
	v_mov_b32_e32 v13, 0
	v_mov_b32_e32 v14, 0
.LBB2_458:                              ;   in Loop: Header=BB2_428 Depth=3
	s_mov_b64 s[22:23], s[4:5]
	s_mov_b32 s27, 0
	s_cbranch_execnz .LBB2_460
.LBB2_459:                              ;   in Loop: Header=BB2_428 Depth=3
	global_load_dwordx2 v[13:14], v45, s[4:5]
	s_add_i32 s27, s26, -8
.LBB2_460:                              ;   in Loop: Header=BB2_428 Depth=3
	s_add_u32 s4, s22, 8
	s_addc_u32 s5, s23, 0
	s_cmp_gt_u32 s27, 7
	s_cbranch_scc1 .LBB2_464
; %bb.461:                              ;   in Loop: Header=BB2_428 Depth=3
	s_cmp_eq_u32 s27, 0
	s_cbranch_scc1 .LBB2_465
; %bb.462:                              ;   in Loop: Header=BB2_428 Depth=3
	v_mov_b32_e32 v15, 0
	s_mov_b64 s[4:5], 0
	v_mov_b32_e32 v16, 0
	s_mov_b64 s[24:25], 0
.LBB2_463:                              ;   Parent Loop BB2_13 Depth=1
                                        ;     Parent Loop BB2_221 Depth=2
                                        ;       Parent Loop BB2_428 Depth=3
                                        ; =>      This Inner Loop Header: Depth=4
	s_add_u32 s28, s22, s24
	s_addc_u32 s29, s23, s25
	global_load_ubyte v2, v45, s[28:29]
	s_add_u32 s24, s24, 1
	s_addc_u32 s25, s25, 0
	s_waitcnt vmcnt(0)
	v_and_b32_e32 v44, 0xffff, v2
	v_lshlrev_b64 v[2:3], s4, v[44:45]
	s_add_u32 s4, s4, 8
	s_addc_u32 s5, s5, 0
	v_or_b32_e32 v15, v2, v15
	s_cmp_lg_u32 s27, s24
	v_or_b32_e32 v16, v3, v16
	s_cbranch_scc1 .LBB2_463
	s_branch .LBB2_466
.LBB2_464:                              ;   in Loop: Header=BB2_428 Depth=3
	s_mov_b32 s26, 0
	s_branch .LBB2_467
.LBB2_465:                              ;   in Loop: Header=BB2_428 Depth=3
	v_mov_b32_e32 v15, 0
	v_mov_b32_e32 v16, 0
.LBB2_466:                              ;   in Loop: Header=BB2_428 Depth=3
	s_mov_b64 s[4:5], s[22:23]
	s_mov_b32 s26, 0
	s_cbranch_execnz .LBB2_468
.LBB2_467:                              ;   in Loop: Header=BB2_428 Depth=3
	global_load_dwordx2 v[15:16], v45, s[22:23]
	s_add_i32 s26, s27, -8
.LBB2_468:                              ;   in Loop: Header=BB2_428 Depth=3
	s_add_u32 s22, s4, 8
	s_addc_u32 s23, s5, 0
	s_cmp_gt_u32 s26, 7
	s_cbranch_scc1 .LBB2_472
; %bb.469:                              ;   in Loop: Header=BB2_428 Depth=3
	s_cmp_eq_u32 s26, 0
	s_cbranch_scc1 .LBB2_473
; %bb.470:                              ;   in Loop: Header=BB2_428 Depth=3
	v_mov_b32_e32 v17, 0
	s_mov_b64 s[22:23], 0
	v_mov_b32_e32 v18, 0
	s_mov_b64 s[24:25], 0
.LBB2_471:                              ;   Parent Loop BB2_13 Depth=1
                                        ;     Parent Loop BB2_221 Depth=2
                                        ;       Parent Loop BB2_428 Depth=3
                                        ; =>      This Inner Loop Header: Depth=4
	s_add_u32 s28, s4, s24
	s_addc_u32 s29, s5, s25
	global_load_ubyte v2, v45, s[28:29]
	s_add_u32 s24, s24, 1
	s_addc_u32 s25, s25, 0
	s_waitcnt vmcnt(0)
	v_and_b32_e32 v44, 0xffff, v2
	v_lshlrev_b64 v[2:3], s22, v[44:45]
	s_add_u32 s22, s22, 8
	s_addc_u32 s23, s23, 0
	v_or_b32_e32 v17, v2, v17
	s_cmp_lg_u32 s26, s24
	v_or_b32_e32 v18, v3, v18
	s_cbranch_scc1 .LBB2_471
	s_branch .LBB2_474
.LBB2_472:                              ;   in Loop: Header=BB2_428 Depth=3
                                        ; implicit-def: $vgpr17_vgpr18
	s_mov_b32 s27, 0
	s_branch .LBB2_475
.LBB2_473:                              ;   in Loop: Header=BB2_428 Depth=3
	v_mov_b32_e32 v17, 0
	v_mov_b32_e32 v18, 0
.LBB2_474:                              ;   in Loop: Header=BB2_428 Depth=3
	s_mov_b64 s[22:23], s[4:5]
	s_mov_b32 s27, 0
	s_cbranch_execnz .LBB2_476
.LBB2_475:                              ;   in Loop: Header=BB2_428 Depth=3
	global_load_dwordx2 v[17:18], v45, s[4:5]
	s_add_i32 s27, s26, -8
.LBB2_476:                              ;   in Loop: Header=BB2_428 Depth=3
	s_cmp_gt_u32 s27, 7
	s_cbranch_scc1 .LBB2_480
; %bb.477:                              ;   in Loop: Header=BB2_428 Depth=3
	s_cmp_eq_u32 s27, 0
	s_cbranch_scc1 .LBB2_481
; %bb.478:                              ;   in Loop: Header=BB2_428 Depth=3
	v_mov_b32_e32 v19, 0
	s_mov_b64 s[4:5], 0
	v_mov_b32_e32 v20, 0
	s_mov_b64 s[24:25], s[22:23]
.LBB2_479:                              ;   Parent Loop BB2_13 Depth=1
                                        ;     Parent Loop BB2_221 Depth=2
                                        ;       Parent Loop BB2_428 Depth=3
                                        ; =>      This Inner Loop Header: Depth=4
	global_load_ubyte v2, v45, s[24:25]
	s_add_i32 s27, s27, -1
	s_waitcnt vmcnt(0)
	v_and_b32_e32 v44, 0xffff, v2
	v_lshlrev_b64 v[2:3], s4, v[44:45]
	s_add_u32 s4, s4, 8
	s_addc_u32 s5, s5, 0
	s_add_u32 s24, s24, 1
	s_addc_u32 s25, s25, 0
	v_or_b32_e32 v19, v2, v19
	s_cmp_lg_u32 s27, 0
	v_or_b32_e32 v20, v3, v20
	s_cbranch_scc1 .LBB2_479
	s_branch .LBB2_482
.LBB2_480:                              ;   in Loop: Header=BB2_428 Depth=3
	s_branch .LBB2_483
.LBB2_481:                              ;   in Loop: Header=BB2_428 Depth=3
	v_mov_b32_e32 v19, 0
	v_mov_b32_e32 v20, 0
.LBB2_482:                              ;   in Loop: Header=BB2_428 Depth=3
	s_cbranch_execnz .LBB2_484
.LBB2_483:                              ;   in Loop: Header=BB2_428 Depth=3
	global_load_dwordx2 v[19:20], v45, s[22:23]
.LBB2_484:                              ;   in Loop: Header=BB2_428 Depth=3
	v_readfirstlane_b32 s4, v58
	v_mov_b32_e32 v2, 0
	v_mov_b32_e32 v3, 0
	v_cmp_eq_u32_e64 s[4:5], s4, v58
	s_and_saveexec_b64 s[22:23], s[4:5]
	s_cbranch_execz .LBB2_490
; %bb.485:                              ;   in Loop: Header=BB2_428 Depth=3
	global_load_dwordx2 v[23:24], v45, s[8:9] offset:24 glc
	s_waitcnt vmcnt(0)
	buffer_wbinvl1_vol
	global_load_dwordx2 v[2:3], v45, s[8:9] offset:40
	global_load_dwordx2 v[21:22], v45, s[8:9]
	s_waitcnt vmcnt(1)
	v_and_b32_e32 v2, v2, v23
	v_and_b32_e32 v3, v3, v24
	v_mul_lo_u32 v3, v3, 24
	v_mul_hi_u32 v31, v2, 24
	v_mul_lo_u32 v2, v2, 24
	v_add_u32_e32 v3, v31, v3
	s_waitcnt vmcnt(0)
	v_add_co_u32_e32 v2, vcc, v21, v2
	v_addc_co_u32_e32 v3, vcc, v22, v3, vcc
	global_load_dwordx2 v[21:22], v[2:3], off glc
	s_waitcnt vmcnt(0)
	global_atomic_cmpswap_x2 v[2:3], v45, v[21:24], s[8:9] offset:24 glc
	s_waitcnt vmcnt(0)
	buffer_wbinvl1_vol
	v_cmp_ne_u64_e32 vcc, v[2:3], v[23:24]
	s_and_saveexec_b64 s[24:25], vcc
	s_cbranch_execz .LBB2_489
; %bb.486:                              ;   in Loop: Header=BB2_428 Depth=3
	s_mov_b64 s[26:27], 0
.LBB2_487:                              ;   Parent Loop BB2_13 Depth=1
                                        ;     Parent Loop BB2_221 Depth=2
                                        ;       Parent Loop BB2_428 Depth=3
                                        ; =>      This Inner Loop Header: Depth=4
	s_sleep 1
	global_load_dwordx2 v[21:22], v45, s[8:9] offset:40
	global_load_dwordx2 v[31:32], v45, s[8:9]
	v_mov_b32_e32 v24, v3
	v_mov_b32_e32 v23, v2
	s_waitcnt vmcnt(1)
	v_and_b32_e32 v2, v21, v23
	s_waitcnt vmcnt(0)
	v_mad_u64_u32 v[2:3], s[28:29], v2, 24, v[31:32]
	v_and_b32_e32 v21, v22, v24
	v_mad_u64_u32 v[21:22], s[28:29], v21, 24, v[3:4]
	v_mov_b32_e32 v3, v21
	global_load_dwordx2 v[21:22], v[2:3], off glc
	s_waitcnt vmcnt(0)
	global_atomic_cmpswap_x2 v[2:3], v45, v[21:24], s[8:9] offset:24 glc
	s_waitcnt vmcnt(0)
	buffer_wbinvl1_vol
	v_cmp_eq_u64_e32 vcc, v[2:3], v[23:24]
	s_or_b64 s[26:27], vcc, s[26:27]
	s_andn2_b64 exec, exec, s[26:27]
	s_cbranch_execnz .LBB2_487
; %bb.488:                              ;   in Loop: Header=BB2_428 Depth=3
	s_or_b64 exec, exec, s[26:27]
.LBB2_489:                              ;   in Loop: Header=BB2_428 Depth=3
	s_or_b64 exec, exec, s[24:25]
.LBB2_490:                              ;   in Loop: Header=BB2_428 Depth=3
	s_or_b64 exec, exec, s[22:23]
	v_readfirstlane_b32 s23, v3
	v_readfirstlane_b32 s22, v2
	global_load_dwordx4 v[21:24], v45, s[8:9]
	global_load_dwordx2 v[2:3], v45, s[8:9] offset:40
	s_waitcnt vmcnt(0)
	v_readfirstlane_b32 s24, v2
	v_readfirstlane_b32 s25, v3
	s_and_b64 s[24:25], s[24:25], s[22:23]
	s_mul_i32 s26, s25, 24
	s_mul_hi_u32 s27, s24, 24
	s_add_i32 s26, s27, s26
	s_mul_i32 s27, s24, 24
	v_add_co_u32_e32 v2, vcc, s27, v21
	v_mov_b32_e32 v3, s26
	v_addc_co_u32_e32 v3, vcc, v22, v3, vcc
	s_mov_b64 s[26:27], exec
	s_and_saveexec_b64 s[28:29], s[4:5]
	s_cbranch_execz .LBB2_492
; %bb.491:                              ;   in Loop: Header=BB2_428 Depth=3
	v_mov_b32_e32 v52, s27
	v_mov_b32_e32 v51, s26
	global_store_dwordx4 v[2:3], v[51:54], off offset:8
.LBB2_492:                              ;   in Loop: Header=BB2_428 Depth=3
	s_or_b64 exec, exec, s[28:29]
	s_lshl_b64 s[24:25], s[24:25], 12
	v_add_co_u32_e32 v23, vcc, s24, v23
	v_mov_b32_e32 v31, s25
	v_cmp_gt_u64_e64 s[24:25], s[18:19], 56
	v_and_b32_e32 v5, 0xffffff1f, v5
	s_and_b64 s[24:25], s[24:25], exec
	s_cselect_b32 s24, 0, 2
	s_lshl_b32 s25, s20, 2
	s_add_i32 s25, s25, 28
	v_addc_co_u32_e32 v24, vcc, v24, v31, vcc
	s_and_b32 s25, s25, 0x1e0
	v_or_b32_e32 v5, s24, v5
	v_or_b32_e32 v5, s25, v5
	v_readfirstlane_b32 s24, v23
	v_readfirstlane_b32 s25, v24
	s_nop 4
	global_store_dwordx4 v30, v[5:8], s[24:25]
	global_store_dwordx4 v30, v[9:12], s[24:25] offset:16
	global_store_dwordx4 v30, v[13:16], s[24:25] offset:32
	;; [unrolled: 1-line block ×3, first 2 shown]
	s_and_saveexec_b64 s[24:25], s[4:5]
	s_cbranch_execz .LBB2_500
; %bb.493:                              ;   in Loop: Header=BB2_428 Depth=3
	global_load_dwordx2 v[13:14], v45, s[8:9] offset:32 glc
	global_load_dwordx2 v[5:6], v45, s[8:9] offset:40
	v_mov_b32_e32 v11, s22
	v_mov_b32_e32 v12, s23
	s_waitcnt vmcnt(0)
	v_readfirstlane_b32 s26, v5
	v_readfirstlane_b32 s27, v6
	s_and_b64 s[26:27], s[26:27], s[22:23]
	s_mul_i32 s27, s27, 24
	s_mul_hi_u32 s28, s26, 24
	s_mul_i32 s26, s26, 24
	s_add_i32 s27, s28, s27
	v_mov_b32_e32 v5, s27
	v_add_co_u32_e32 v9, vcc, s26, v21
	v_addc_co_u32_e32 v10, vcc, v22, v5, vcc
	global_store_dwordx2 v[9:10], v[13:14], off
	s_waitcnt vmcnt(0)
	global_atomic_cmpswap_x2 v[7:8], v45, v[11:14], s[8:9] offset:32 glc
	s_waitcnt vmcnt(0)
	v_cmp_ne_u64_e32 vcc, v[7:8], v[13:14]
	s_and_saveexec_b64 s[26:27], vcc
	s_cbranch_execz .LBB2_496
; %bb.494:                              ;   in Loop: Header=BB2_428 Depth=3
	s_mov_b64 s[28:29], 0
.LBB2_495:                              ;   Parent Loop BB2_13 Depth=1
                                        ;     Parent Loop BB2_221 Depth=2
                                        ;       Parent Loop BB2_428 Depth=3
                                        ; =>      This Inner Loop Header: Depth=4
	s_sleep 1
	global_store_dwordx2 v[9:10], v[7:8], off
	v_mov_b32_e32 v5, s22
	v_mov_b32_e32 v6, s23
	s_waitcnt vmcnt(0)
	global_atomic_cmpswap_x2 v[5:6], v45, v[5:8], s[8:9] offset:32 glc
	s_waitcnt vmcnt(0)
	v_cmp_eq_u64_e32 vcc, v[5:6], v[7:8]
	v_mov_b32_e32 v8, v6
	s_or_b64 s[28:29], vcc, s[28:29]
	v_mov_b32_e32 v7, v5
	s_andn2_b64 exec, exec, s[28:29]
	s_cbranch_execnz .LBB2_495
.LBB2_496:                              ;   in Loop: Header=BB2_428 Depth=3
	s_or_b64 exec, exec, s[26:27]
	global_load_dwordx2 v[5:6], v45, s[8:9] offset:16
	s_mov_b64 s[28:29], exec
	v_mbcnt_lo_u32_b32 v7, s28, 0
	v_mbcnt_hi_u32_b32 v7, s29, v7
	v_cmp_eq_u32_e32 vcc, 0, v7
	s_and_saveexec_b64 s[26:27], vcc
	s_cbranch_execz .LBB2_498
; %bb.497:                              ;   in Loop: Header=BB2_428 Depth=3
	s_bcnt1_i32_b64 s28, s[28:29]
	v_mov_b32_e32 v44, s28
	s_waitcnt vmcnt(0)
	global_atomic_add_x2 v[5:6], v[44:45], off offset:8
.LBB2_498:                              ;   in Loop: Header=BB2_428 Depth=3
	s_or_b64 exec, exec, s[26:27]
	s_waitcnt vmcnt(0)
	global_load_dwordx2 v[7:8], v[5:6], off offset:16
	s_waitcnt vmcnt(0)
	v_cmp_eq_u64_e32 vcc, 0, v[7:8]
	s_cbranch_vccnz .LBB2_500
; %bb.499:                              ;   in Loop: Header=BB2_428 Depth=3
	global_load_dword v44, v[5:6], off offset:24
	s_waitcnt vmcnt(0)
	v_readfirstlane_b32 s26, v44
	s_and_b32 m0, s26, 0xffffff
	global_store_dwordx2 v[7:8], v[44:45], off
	s_sendmsg sendmsg(MSG_INTERRUPT)
.LBB2_500:                              ;   in Loop: Header=BB2_428 Depth=3
	s_or_b64 exec, exec, s[24:25]
	v_add_co_u32_e32 v5, vcc, v23, v30
	v_addc_co_u32_e32 v6, vcc, 0, v24, vcc
	s_branch .LBB2_504
.LBB2_501:                              ;   in Loop: Header=BB2_504 Depth=4
	s_or_b64 exec, exec, s[24:25]
	v_readfirstlane_b32 s24, v7
	s_cmp_eq_u32 s24, 0
	s_cbranch_scc1 .LBB2_503
; %bb.502:                              ;   in Loop: Header=BB2_504 Depth=4
	s_sleep 1
	s_cbranch_execnz .LBB2_504
	s_branch .LBB2_506
.LBB2_503:                              ;   in Loop: Header=BB2_428 Depth=3
	s_branch .LBB2_506
.LBB2_504:                              ;   Parent Loop BB2_13 Depth=1
                                        ;     Parent Loop BB2_221 Depth=2
                                        ;       Parent Loop BB2_428 Depth=3
                                        ; =>      This Inner Loop Header: Depth=4
	v_mov_b32_e32 v7, 1
	s_and_saveexec_b64 s[24:25], s[4:5]
	s_cbranch_execz .LBB2_501
; %bb.505:                              ;   in Loop: Header=BB2_504 Depth=4
	global_load_dword v7, v[2:3], off offset:20 glc
	s_waitcnt vmcnt(0)
	buffer_wbinvl1_vol
	v_and_b32_e32 v7, 1, v7
	s_branch .LBB2_501
.LBB2_506:                              ;   in Loop: Header=BB2_428 Depth=3
	global_load_dwordx4 v[5:8], v[5:6], off
	s_and_saveexec_b64 s[24:25], s[4:5]
	s_cbranch_execz .LBB2_427
; %bb.507:                              ;   in Loop: Header=BB2_428 Depth=3
	global_load_dwordx2 v[2:3], v45, s[8:9] offset:40
	global_load_dwordx2 v[11:12], v45, s[8:9] offset:24 glc
	global_load_dwordx2 v[7:8], v45, s[8:9]
	s_waitcnt vmcnt(2)
	v_readfirstlane_b32 s26, v2
	v_readfirstlane_b32 s27, v3
	s_add_u32 s28, s26, 1
	s_addc_u32 s29, s27, 0
	s_add_u32 s4, s28, s22
	s_addc_u32 s5, s29, s23
	s_cmp_eq_u64 s[4:5], 0
	s_cselect_b32 s5, s29, s5
	s_cselect_b32 s4, s28, s4
	s_and_b64 s[22:23], s[4:5], s[26:27]
	s_mul_i32 s23, s23, 24
	s_mul_hi_u32 s26, s22, 24
	s_mul_i32 s22, s22, 24
	s_add_i32 s23, s26, s23
	v_mov_b32_e32 v3, s23
	s_waitcnt vmcnt(0)
	v_add_co_u32_e32 v2, vcc, s22, v7
	v_addc_co_u32_e32 v3, vcc, v8, v3, vcc
	v_mov_b32_e32 v9, s4
	global_store_dwordx2 v[2:3], v[11:12], off
	v_mov_b32_e32 v10, s5
	s_waitcnt vmcnt(0)
	global_atomic_cmpswap_x2 v[9:10], v45, v[9:12], s[8:9] offset:24 glc
	s_waitcnt vmcnt(0)
	v_cmp_ne_u64_e32 vcc, v[9:10], v[11:12]
	s_and_b64 exec, exec, vcc
	s_cbranch_execz .LBB2_427
; %bb.508:                              ;   in Loop: Header=BB2_428 Depth=3
	s_mov_b64 s[22:23], 0
.LBB2_509:                              ;   Parent Loop BB2_13 Depth=1
                                        ;     Parent Loop BB2_221 Depth=2
                                        ;       Parent Loop BB2_428 Depth=3
                                        ; =>      This Inner Loop Header: Depth=4
	s_sleep 1
	global_store_dwordx2 v[2:3], v[9:10], off
	v_mov_b32_e32 v7, s4
	v_mov_b32_e32 v8, s5
	s_waitcnt vmcnt(0)
	global_atomic_cmpswap_x2 v[7:8], v45, v[7:10], s[8:9] offset:24 glc
	s_waitcnt vmcnt(0)
	v_cmp_eq_u64_e32 vcc, v[7:8], v[9:10]
	v_mov_b32_e32 v10, v8
	s_or_b64 s[22:23], vcc, s[22:23]
	v_mov_b32_e32 v9, v7
	s_andn2_b64 exec, exec, s[22:23]
	s_cbranch_execnz .LBB2_509
	s_branch .LBB2_427
.LBB2_510:                              ;   in Loop: Header=BB2_221 Depth=2
	s_branch .LBB2_538
.LBB2_511:                              ;   in Loop: Header=BB2_221 Depth=2
	s_cbranch_execz .LBB2_538
; %bb.512:                              ;   in Loop: Header=BB2_221 Depth=2
	v_readfirstlane_b32 s4, v58
	v_mov_b32_e32 v2, 0
	v_mov_b32_e32 v3, 0
	v_cmp_eq_u32_e64 s[4:5], s4, v58
	s_and_saveexec_b64 s[16:17], s[4:5]
	s_cbranch_execz .LBB2_518
; %bb.513:                              ;   in Loop: Header=BB2_221 Depth=2
	global_load_dwordx2 v[7:8], v45, s[8:9] offset:24 glc
	s_waitcnt vmcnt(0)
	buffer_wbinvl1_vol
	global_load_dwordx2 v[2:3], v45, s[8:9] offset:40
	global_load_dwordx2 v[5:6], v45, s[8:9]
	s_waitcnt vmcnt(1)
	v_and_b32_e32 v2, v2, v7
	v_and_b32_e32 v3, v3, v8
	v_mul_lo_u32 v3, v3, 24
	v_mul_hi_u32 v9, v2, 24
	v_mul_lo_u32 v2, v2, 24
	v_add_u32_e32 v3, v9, v3
	s_waitcnt vmcnt(0)
	v_add_co_u32_e32 v2, vcc, v5, v2
	v_addc_co_u32_e32 v3, vcc, v6, v3, vcc
	global_load_dwordx2 v[5:6], v[2:3], off glc
	s_waitcnt vmcnt(0)
	global_atomic_cmpswap_x2 v[2:3], v45, v[5:8], s[8:9] offset:24 glc
	s_waitcnt vmcnt(0)
	buffer_wbinvl1_vol
	v_cmp_ne_u64_e32 vcc, v[2:3], v[7:8]
	s_and_saveexec_b64 s[18:19], vcc
	s_cbranch_execz .LBB2_517
; %bb.514:                              ;   in Loop: Header=BB2_221 Depth=2
	s_mov_b64 s[20:21], 0
.LBB2_515:                              ;   Parent Loop BB2_13 Depth=1
                                        ;     Parent Loop BB2_221 Depth=2
                                        ; =>    This Inner Loop Header: Depth=3
	s_sleep 1
	global_load_dwordx2 v[5:6], v45, s[8:9] offset:40
	global_load_dwordx2 v[9:10], v45, s[8:9]
	v_mov_b32_e32 v8, v3
	v_mov_b32_e32 v7, v2
	s_waitcnt vmcnt(1)
	v_and_b32_e32 v2, v5, v7
	s_waitcnt vmcnt(0)
	v_mad_u64_u32 v[2:3], s[22:23], v2, 24, v[9:10]
	v_and_b32_e32 v5, v6, v8
	v_mad_u64_u32 v[5:6], s[22:23], v5, 24, v[3:4]
	v_mov_b32_e32 v3, v5
	global_load_dwordx2 v[5:6], v[2:3], off glc
	s_waitcnt vmcnt(0)
	global_atomic_cmpswap_x2 v[2:3], v45, v[5:8], s[8:9] offset:24 glc
	s_waitcnt vmcnt(0)
	buffer_wbinvl1_vol
	v_cmp_eq_u64_e32 vcc, v[2:3], v[7:8]
	s_or_b64 s[20:21], vcc, s[20:21]
	s_andn2_b64 exec, exec, s[20:21]
	s_cbranch_execnz .LBB2_515
; %bb.516:                              ;   in Loop: Header=BB2_221 Depth=2
	s_or_b64 exec, exec, s[20:21]
.LBB2_517:                              ;   in Loop: Header=BB2_221 Depth=2
	s_or_b64 exec, exec, s[18:19]
.LBB2_518:                              ;   in Loop: Header=BB2_221 Depth=2
	s_or_b64 exec, exec, s[16:17]
	global_load_dwordx2 v[9:10], v45, s[8:9] offset:40
	global_load_dwordx4 v[5:8], v45, s[8:9]
	v_readfirstlane_b32 s17, v3
	v_readfirstlane_b32 s16, v2
	s_mov_b64 s[18:19], exec
	s_waitcnt vmcnt(1)
	v_readfirstlane_b32 s20, v9
	v_readfirstlane_b32 s21, v10
	s_and_b64 s[20:21], s[20:21], s[16:17]
	s_mul_i32 s22, s21, 24
	s_mul_hi_u32 s23, s20, 24
	s_mul_i32 s24, s20, 24
	s_add_i32 s22, s23, s22
	v_mov_b32_e32 v2, s22
	s_waitcnt vmcnt(0)
	v_add_co_u32_e32 v9, vcc, s24, v5
	v_addc_co_u32_e32 v10, vcc, v6, v2, vcc
	s_and_saveexec_b64 s[22:23], s[4:5]
	s_cbranch_execz .LBB2_520
; %bb.519:                              ;   in Loop: Header=BB2_221 Depth=2
	v_mov_b32_e32 v52, s19
	v_mov_b32_e32 v51, s18
	global_store_dwordx4 v[9:10], v[51:54], off offset:8
.LBB2_520:                              ;   in Loop: Header=BB2_221 Depth=2
	s_or_b64 exec, exec, s[22:23]
	s_lshl_b64 s[18:19], s[20:21], 12
	v_mov_b32_e32 v2, s19
	v_add_co_u32_e32 v7, vcc, s18, v7
	v_addc_co_u32_e32 v8, vcc, v8, v2, vcc
	v_and_or_b32 v0, v0, s88, 34
	v_mov_b32_e32 v2, v45
	v_mov_b32_e32 v3, v45
	v_readfirstlane_b32 s18, v7
	v_readfirstlane_b32 s19, v8
	s_mov_b32 s53, s52
	s_mov_b32 s54, s52
	s_mov_b32 s55, s52
	s_nop 1
	global_store_dwordx4 v30, v[0:3], s[18:19]
	s_nop 0
	v_mov_b32_e32 v0, s52
	v_mov_b32_e32 v1, s53
	;; [unrolled: 1-line block ×4, first 2 shown]
	global_store_dwordx4 v30, v[0:3], s[18:19] offset:16
	global_store_dwordx4 v30, v[0:3], s[18:19] offset:32
	;; [unrolled: 1-line block ×3, first 2 shown]
	s_and_saveexec_b64 s[18:19], s[4:5]
	s_cbranch_execz .LBB2_528
; %bb.521:                              ;   in Loop: Header=BB2_221 Depth=2
	global_load_dwordx2 v[13:14], v45, s[8:9] offset:32 glc
	global_load_dwordx2 v[0:1], v45, s[8:9] offset:40
	v_mov_b32_e32 v11, s16
	v_mov_b32_e32 v12, s17
	s_waitcnt vmcnt(0)
	v_readfirstlane_b32 s20, v0
	v_readfirstlane_b32 s21, v1
	s_and_b64 s[20:21], s[20:21], s[16:17]
	s_mul_i32 s21, s21, 24
	s_mul_hi_u32 s22, s20, 24
	s_mul_i32 s20, s20, 24
	s_add_i32 s21, s22, s21
	v_mov_b32_e32 v0, s21
	v_add_co_u32_e32 v5, vcc, s20, v5
	v_addc_co_u32_e32 v6, vcc, v6, v0, vcc
	global_store_dwordx2 v[5:6], v[13:14], off
	s_waitcnt vmcnt(0)
	global_atomic_cmpswap_x2 v[2:3], v45, v[11:14], s[8:9] offset:32 glc
	s_waitcnt vmcnt(0)
	v_cmp_ne_u64_e32 vcc, v[2:3], v[13:14]
	s_and_saveexec_b64 s[20:21], vcc
	s_cbranch_execz .LBB2_524
; %bb.522:                              ;   in Loop: Header=BB2_221 Depth=2
	s_mov_b64 s[22:23], 0
.LBB2_523:                              ;   Parent Loop BB2_13 Depth=1
                                        ;     Parent Loop BB2_221 Depth=2
                                        ; =>    This Inner Loop Header: Depth=3
	s_sleep 1
	global_store_dwordx2 v[5:6], v[2:3], off
	v_mov_b32_e32 v0, s16
	v_mov_b32_e32 v1, s17
	s_waitcnt vmcnt(0)
	global_atomic_cmpswap_x2 v[0:1], v45, v[0:3], s[8:9] offset:32 glc
	s_waitcnt vmcnt(0)
	v_cmp_eq_u64_e32 vcc, v[0:1], v[2:3]
	v_mov_b32_e32 v3, v1
	s_or_b64 s[22:23], vcc, s[22:23]
	v_mov_b32_e32 v2, v0
	s_andn2_b64 exec, exec, s[22:23]
	s_cbranch_execnz .LBB2_523
.LBB2_524:                              ;   in Loop: Header=BB2_221 Depth=2
	s_or_b64 exec, exec, s[20:21]
	global_load_dwordx2 v[0:1], v45, s[8:9] offset:16
	s_mov_b64 s[22:23], exec
	v_mbcnt_lo_u32_b32 v2, s22, 0
	v_mbcnt_hi_u32_b32 v2, s23, v2
	v_cmp_eq_u32_e32 vcc, 0, v2
	s_and_saveexec_b64 s[20:21], vcc
	s_cbranch_execz .LBB2_526
; %bb.525:                              ;   in Loop: Header=BB2_221 Depth=2
	s_bcnt1_i32_b64 s22, s[22:23]
	v_mov_b32_e32 v44, s22
	s_waitcnt vmcnt(0)
	global_atomic_add_x2 v[0:1], v[44:45], off offset:8
.LBB2_526:                              ;   in Loop: Header=BB2_221 Depth=2
	s_or_b64 exec, exec, s[20:21]
	s_waitcnt vmcnt(0)
	global_load_dwordx2 v[2:3], v[0:1], off offset:16
	s_waitcnt vmcnt(0)
	v_cmp_eq_u64_e32 vcc, 0, v[2:3]
	s_cbranch_vccnz .LBB2_528
; %bb.527:                              ;   in Loop: Header=BB2_221 Depth=2
	global_load_dword v44, v[0:1], off offset:24
	s_waitcnt vmcnt(0)
	v_readfirstlane_b32 s20, v44
	s_and_b32 m0, s20, 0xffffff
	global_store_dwordx2 v[2:3], v[44:45], off
	s_sendmsg sendmsg(MSG_INTERRUPT)
.LBB2_528:                              ;   in Loop: Header=BB2_221 Depth=2
	s_or_b64 exec, exec, s[18:19]
	s_branch .LBB2_532
.LBB2_529:                              ;   in Loop: Header=BB2_532 Depth=3
	s_or_b64 exec, exec, s[18:19]
	v_readfirstlane_b32 s18, v0
	s_cmp_eq_u32 s18, 0
	s_cbranch_scc1 .LBB2_531
; %bb.530:                              ;   in Loop: Header=BB2_532 Depth=3
	s_sleep 1
	s_cbranch_execnz .LBB2_532
	s_branch .LBB2_534
.LBB2_531:                              ;   in Loop: Header=BB2_221 Depth=2
	s_branch .LBB2_534
.LBB2_532:                              ;   Parent Loop BB2_13 Depth=1
                                        ;     Parent Loop BB2_221 Depth=2
                                        ; =>    This Inner Loop Header: Depth=3
	v_mov_b32_e32 v0, 1
	s_and_saveexec_b64 s[18:19], s[4:5]
	s_cbranch_execz .LBB2_529
; %bb.533:                              ;   in Loop: Header=BB2_532 Depth=3
	global_load_dword v0, v[9:10], off offset:20 glc
	s_waitcnt vmcnt(0)
	buffer_wbinvl1_vol
	v_and_b32_e32 v0, 1, v0
	s_branch .LBB2_529
.LBB2_534:                              ;   in Loop: Header=BB2_221 Depth=2
	s_and_b64 exec, exec, s[4:5]
	s_cbranch_execz .LBB2_538
; %bb.535:                              ;   in Loop: Header=BB2_221 Depth=2
	global_load_dwordx2 v[0:1], v45, s[8:9] offset:40
	global_load_dwordx2 v[9:10], v45, s[8:9] offset:24 glc
	global_load_dwordx2 v[2:3], v45, s[8:9]
	s_waitcnt vmcnt(2)
	v_readfirstlane_b32 s18, v0
	v_readfirstlane_b32 s19, v1
	s_add_u32 s20, s18, 1
	s_addc_u32 s21, s19, 0
	s_add_u32 s4, s20, s16
	s_addc_u32 s5, s21, s17
	s_cmp_eq_u64 s[4:5], 0
	s_cselect_b32 s5, s21, s5
	s_cselect_b32 s4, s20, s4
	s_and_b64 s[16:17], s[4:5], s[18:19]
	s_mul_i32 s17, s17, 24
	s_mul_hi_u32 s18, s16, 24
	s_mul_i32 s16, s16, 24
	s_add_i32 s17, s18, s17
	v_mov_b32_e32 v0, s17
	s_waitcnt vmcnt(0)
	v_add_co_u32_e32 v5, vcc, s16, v2
	v_addc_co_u32_e32 v6, vcc, v3, v0, vcc
	v_mov_b32_e32 v7, s4
	global_store_dwordx2 v[5:6], v[9:10], off
	v_mov_b32_e32 v8, s5
	s_waitcnt vmcnt(0)
	global_atomic_cmpswap_x2 v[2:3], v45, v[7:10], s[8:9] offset:24 glc
	s_waitcnt vmcnt(0)
	v_cmp_ne_u64_e32 vcc, v[2:3], v[9:10]
	s_and_b64 exec, exec, vcc
	s_cbranch_execz .LBB2_538
; %bb.536:                              ;   in Loop: Header=BB2_221 Depth=2
	s_mov_b64 s[16:17], 0
.LBB2_537:                              ;   Parent Loop BB2_13 Depth=1
                                        ;     Parent Loop BB2_221 Depth=2
                                        ; =>    This Inner Loop Header: Depth=3
	s_sleep 1
	global_store_dwordx2 v[5:6], v[2:3], off
	v_mov_b32_e32 v0, s4
	v_mov_b32_e32 v1, s5
	s_waitcnt vmcnt(0)
	global_atomic_cmpswap_x2 v[0:1], v45, v[0:3], s[8:9] offset:24 glc
	s_waitcnt vmcnt(0)
	v_cmp_eq_u64_e32 vcc, v[0:1], v[2:3]
	v_mov_b32_e32 v3, v1
	s_or_b64 s[16:17], vcc, s[16:17]
	v_mov_b32_e32 v2, v0
	s_andn2_b64 exec, exec, s[16:17]
	s_cbranch_execnz .LBB2_537
.LBB2_538:                              ;   in Loop: Header=BB2_221 Depth=2
	s_or_b64 exec, exec, s[6:7]
	buffer_load_ubyte v0, off, s[0:3], 0
	v_mov_b32_e32 v2, 0x58
	v_cmp_lt_i32_e32 vcc, 0, v29
	global_store_byte v[25:26], v2, off offset:48
	global_store_dword v[25:26], v45, off offset:52
	s_and_saveexec_b64 s[16:17], vcc
	s_cbranch_execz .LBB2_544
; %bb.539:                              ;   in Loop: Header=BB2_221 Depth=2
	v_cmp_lt_u32_e32 vcc, 3, v29
	s_mov_b64 s[4:5], 0
                                        ; implicit-def: $vgpr1
	s_and_saveexec_b64 s[6:7], vcc
	s_xor_b64 s[18:19], exec, s[6:7]
	s_cbranch_execnz .LBB2_552
; %bb.540:                              ;   in Loop: Header=BB2_221 Depth=2
	s_andn2_saveexec_b64 s[6:7], s[18:19]
	s_cbranch_execnz .LBB2_571
.LBB2_541:                              ;   in Loop: Header=BB2_221 Depth=2
	s_or_b64 exec, exec, s[6:7]
	v_mov_b32_e32 v2, 0x58
	s_and_saveexec_b64 s[6:7], s[4:5]
	s_cbranch_execz .LBB2_543
.LBB2_542:                              ;   in Loop: Header=BB2_221 Depth=2
	s_waitcnt vmcnt(0)
	v_mov_b32_e32 v2, v1
	global_store_byte v[25:26], v1, off offset:48
.LBB2_543:                              ;   in Loop: Header=BB2_221 Depth=2
	s_or_b64 exec, exec, s[6:7]
.LBB2_544:                              ;   in Loop: Header=BB2_221 Depth=2
	s_or_b64 exec, exec, s[16:17]
	s_waitcnt vmcnt(0)
	v_cmp_eq_u16_sdwa s[4:5], v0, v2 src0_sel:BYTE_0 src1_sel:BYTE_0
	v_cmp_ne_u16_sdwa s[8:9], v0, v2 src0_sel:BYTE_0 src1_sel:BYTE_0
	v_mov_b32_e32 v0, 0
	s_and_saveexec_b64 s[6:7], s[8:9]
	s_cbranch_execz .LBB2_550
; %bb.545:                              ;   in Loop: Header=BB2_221 Depth=2
	buffer_load_ubyte v0, off, s[0:3], 0 offset:16
	s_waitcnt vmcnt(0)
	v_cmp_eq_u16_sdwa s[8:9], v0, v2 src0_sel:DWORD src1_sel:BYTE_0
	v_cmp_ne_u16_sdwa s[18:19], v0, v2 src0_sel:DWORD src1_sel:BYTE_0
	v_mov_b32_e32 v0, s45
	s_and_saveexec_b64 s[16:17], s[18:19]
	s_cbranch_execz .LBB2_549
; %bb.546:                              ;   in Loop: Header=BB2_221 Depth=2
	buffer_load_ubyte v0, off, s[0:3], 0 offset:32
	s_waitcnt vmcnt(0)
	v_cmp_eq_u16_sdwa s[18:19], v0, v2 src0_sel:DWORD src1_sel:BYTE_0
	v_cmp_ne_u16_sdwa s[22:23], v0, v2 src0_sel:DWORD src1_sel:BYTE_0
	v_mov_b32_e32 v0, s86
	s_and_saveexec_b64 s[20:21], s[22:23]
	s_cbranch_execz .LBB2_548
; %bb.547:                              ;   in Loop: Header=BB2_221 Depth=2
	buffer_load_ubyte v1, off, s[0:3], 0 offset:48
	s_andn2_b64 s[18:19], s[18:19], exec
	v_mov_b32_e32 v0, s87
	s_waitcnt vmcnt(0)
	v_cmp_eq_u16_sdwa s[22:23], v1, v2 src0_sel:DWORD src1_sel:BYTE_0
	s_and_b64 s[22:23], s[22:23], exec
	s_or_b64 s[18:19], s[18:19], s[22:23]
.LBB2_548:                              ;   in Loop: Header=BB2_221 Depth=2
	s_or_b64 exec, exec, s[20:21]
	s_andn2_b64 s[8:9], s[8:9], exec
	s_and_b64 s[18:19], s[18:19], exec
	s_or_b64 s[8:9], s[8:9], s[18:19]
.LBB2_549:                              ;   in Loop: Header=BB2_221 Depth=2
	s_or_b64 exec, exec, s[16:17]
	s_andn2_b64 s[4:5], s[4:5], exec
	s_and_b64 s[8:9], s[8:9], exec
	s_or_b64 s[4:5], s[4:5], s[8:9]
.LBB2_550:                              ;   in Loop: Header=BB2_221 Depth=2
	s_or_b64 exec, exec, s[6:7]
	s_and_b64 exec, exec, s[4:5]
	s_cbranch_execz .LBB2_220
; %bb.551:                              ;   in Loop: Header=BB2_221 Depth=2
	buffer_load_dword v0, v0, s[0:3], 0 offen offset:8
	s_waitcnt vmcnt(0)
	global_store_dword v[25:26], v0, off offset:52
	s_branch .LBB2_220
.LBB2_552:                              ;   in Loop: Header=BB2_221 Depth=2
	v_cmp_lt_u32_e32 vcc, 5, v29
                                        ; implicit-def: $vgpr1
	s_and_saveexec_b64 s[6:7], vcc
	s_xor_b64 s[20:21], exec, s[6:7]
	s_cbranch_execz .LBB2_568
; %bb.553:                              ;   in Loop: Header=BB2_221 Depth=2
	v_cmp_ne_u32_e32 vcc, 6, v29
                                        ; implicit-def: $vgpr1
	s_and_saveexec_b64 s[6:7], vcc
	s_xor_b64 s[22:23], exec, s[6:7]
	s_cbranch_execz .LBB2_565
; %bb.554:                              ;   in Loop: Header=BB2_221 Depth=2
	v_cmp_gt_i32_e32 vcc, 7, v28
	v_cmp_lt_i32_e64 s[4:5], 6, v28
	s_waitcnt vmcnt(0)
	v_mov_b32_e32 v1, v0
	s_and_saveexec_b64 s[24:25], s[4:5]
	s_cbranch_execz .LBB2_564
; %bb.555:                              ;   in Loop: Header=BB2_221 Depth=2
	buffer_load_dword v1, off, s[0:3], 0 offset:44
	s_waitcnt vmcnt(0)
	v_cmp_eq_u32_e64 s[4:5], 7, v1
	v_cmp_ne_u32_e64 s[6:7], 7, v1
	v_mov_b32_e32 v1, 0x46
	s_and_saveexec_b64 s[26:27], s[6:7]
	s_cbranch_execz .LBB2_563
; %bb.556:                              ;   in Loop: Header=BB2_221 Depth=2
	buffer_load_dword v2, off, s[0:3], 0 offset:8
	buffer_load_dword v3, off, s[0:3], 0 offset:24
	v_mov_b32_e32 v1, 0x46
	s_waitcnt vmcnt(0)
	v_cmp_eq_u32_e64 s[6:7], v2, v3
	v_cmp_ne_u32_e64 s[8:9], v2, v3
	s_and_saveexec_b64 s[28:29], s[8:9]
	s_cbranch_execz .LBB2_562
; %bb.557:                              ;   in Loop: Header=BB2_221 Depth=2
	v_cmp_le_u32_e64 s[8:9], v2, v3
	s_mov_b64 s[40:41], -1
	v_mov_b32_e32 v1, v0
	s_and_saveexec_b64 s[30:31], s[8:9]
	s_cbranch_execz .LBB2_561
; %bb.558:                              ;   in Loop: Header=BB2_221 Depth=2
	v_cmp_gt_u32_e64 s[8:9], v3, v2
	s_mov_b64 s[40:41], 0
	v_mov_b32_e32 v1, v0
	s_and_saveexec_b64 s[42:43], s[8:9]
	s_xor_b64 s[8:9], exec, s[42:43]
	s_cbranch_execz .LBB2_560
; %bb.559:                              ;   in Loop: Header=BB2_221 Depth=2
	buffer_load_ubyte v1, off, s[0:3], 0 offset:16
	s_mov_b64 s[40:41], exec
.LBB2_560:                              ;   in Loop: Header=BB2_221 Depth=2
	s_or_b64 exec, exec, s[8:9]
	s_orn2_b64 s[40:41], s[40:41], exec
.LBB2_561:                              ;   in Loop: Header=BB2_221 Depth=2
	s_or_b64 exec, exec, s[30:31]
	s_andn2_b64 s[6:7], s[6:7], exec
	s_and_b64 s[8:9], s[40:41], exec
	s_or_b64 s[6:7], s[6:7], s[8:9]
.LBB2_562:                              ;   in Loop: Header=BB2_221 Depth=2
	s_or_b64 exec, exec, s[28:29]
	s_andn2_b64 s[4:5], s[4:5], exec
	s_and_b64 s[6:7], s[6:7], exec
	s_or_b64 s[4:5], s[4:5], s[6:7]
.LBB2_563:                              ;   in Loop: Header=BB2_221 Depth=2
	s_or_b64 exec, exec, s[26:27]
	s_andn2_b64 s[6:7], vcc, exec
	s_and_b64 s[4:5], s[4:5], exec
	s_or_b64 vcc, s[6:7], s[4:5]
.LBB2_564:                              ;   in Loop: Header=BB2_221 Depth=2
	s_or_b64 exec, exec, s[24:25]
	s_and_b64 s[4:5], vcc, exec
                                        ; implicit-def: $vgpr28
.LBB2_565:                              ;   in Loop: Header=BB2_221 Depth=2
	s_andn2_saveexec_b64 s[6:7], s[22:23]
	s_cbranch_execz .LBB2_567
; %bb.566:                              ;   in Loop: Header=BB2_221 Depth=2
	v_cmp_gt_i32_e32 vcc, 4, v28
	s_andn2_b64 s[4:5], s[4:5], exec
	s_and_b64 s[8:9], vcc, exec
	s_or_b64 s[4:5], s[4:5], s[8:9]
	s_waitcnt vmcnt(0)
	v_mov_b32_e32 v1, v0
.LBB2_567:                              ;   in Loop: Header=BB2_221 Depth=2
	s_or_b64 exec, exec, s[6:7]
	s_and_b64 s[4:5], s[4:5], exec
                                        ; implicit-def: $vgpr28
.LBB2_568:                              ;   in Loop: Header=BB2_221 Depth=2
	s_andn2_saveexec_b64 s[6:7], s[20:21]
	s_cbranch_execz .LBB2_570
; %bb.569:                              ;   in Loop: Header=BB2_221 Depth=2
	v_cmp_gt_i32_e32 vcc, 3, v28
	s_andn2_b64 s[4:5], s[4:5], exec
	s_and_b64 s[8:9], vcc, exec
	s_or_b64 s[4:5], s[4:5], s[8:9]
	s_waitcnt vmcnt(0)
	v_mov_b32_e32 v1, v0
.LBB2_570:                              ;   in Loop: Header=BB2_221 Depth=2
	s_or_b64 exec, exec, s[6:7]
	s_and_b64 s[4:5], s[4:5], exec
                                        ; implicit-def: $vgpr28
	s_andn2_saveexec_b64 s[6:7], s[18:19]
	s_cbranch_execz .LBB2_541
.LBB2_571:                              ;   in Loop: Header=BB2_221 Depth=2
	v_cmp_eq_u32_e32 vcc, 0, v28
	s_andn2_b64 s[4:5], s[4:5], exec
	s_and_b64 s[8:9], vcc, exec
	s_or_b64 s[4:5], s[4:5], s[8:9]
	s_waitcnt vmcnt(0)
	v_mov_b32_e32 v1, v0
	s_or_b64 exec, exec, s[6:7]
	v_mov_b32_e32 v2, 0x58
	s_and_saveexec_b64 s[6:7], s[4:5]
	s_cbranch_execnz .LBB2_542
	s_branch .LBB2_543
.LBB2_572:                              ;   in Loop: Header=BB2_13 Depth=1
	s_or_b64 exec, exec, s[10:11]
	s_and_saveexec_b64 s[4:5], s[48:49]
	s_cbranch_execz .LBB2_575
; %bb.573:                              ;   in Loop: Header=BB2_13 Depth=1
	buffer_load_dword v1, off, s[0:3], 0 offset:72 ; 4-byte Folded Reload
	buffer_load_dword v2, off, s[0:3], 0 offset:76 ; 4-byte Folded Reload
	s_mov_b64 s[6:7], 0
	s_waitcnt vmcnt(0)
	v_or_b32_e32 v44, 64, v1
	v_mov_b32_e32 v0, v1
	v_mov_b32_e32 v1, v2
.LBB2_574:                              ;   Parent Loop BB2_13 Depth=1
                                        ; =>  This Inner Loop Header: Depth=2
	v_mad_u64_u32 v[2:3], s[8:9], v0, 24, v[33:34]
	v_cmp_le_u64_e32 vcc, s[66:67], v[44:45]
	s_or_b64 s[6:7], vcc, s[6:7]
	v_mov_b32_e32 v0, v3
	v_mad_u64_u32 v[5:6], s[8:9], v1, 24, v[0:1]
	v_mov_b32_e32 v0, v44
	v_mov_b32_e32 v1, v45
	v_add_u32_e32 v44, 64, v44
	v_mov_b32_e32 v3, v5
	global_store_dword v[2:3], v50, off offset:8
	s_andn2_b64 exec, exec, s[6:7]
	s_cbranch_execnz .LBB2_574
.LBB2_575:                              ;   in Loop: Header=BB2_13 Depth=1
	s_or_b64 exec, exec, s[4:5]
	s_mov_b64 s[8:9], -1
	s_mov_b64 s[4:5], -1
	s_and_saveexec_b64 s[10:11], s[50:51]
	s_cbranch_execz .LBB2_716
; %bb.576:                              ;   in Loop: Header=BB2_13 Depth=1
	buffer_load_dword v0, off, s[0:3], 0 offset:164 ; 4-byte Folded Reload
	buffer_load_dword v2, off, s[0:3], 0 offset:168 ; 4-byte Folded Reload
	;; [unrolled: 1-line block ×3, first 2 shown]
	s_mov_b64 s[4:5], 0
	s_mov_b64 s[6:7], 0
	s_waitcnt vmcnt(0)
	v_sub_u32_e32 v0, v0, v4
	v_ashrrev_i32_e32 v1, 31, v0
	v_add_co_u32_e32 v0, vcc, v2, v0
	v_addc_co_u32_e32 v1, vcc, v3, v1, vcc
	v_max_i32_e32 v2, 1, v4
.LBB2_577:                              ;   Parent Loop BB2_13 Depth=1
                                        ; =>  This Inner Loop Header: Depth=2
	v_mov_b32_e32 v3, s7
	v_add_co_u32_e32 v5, vcc, s6, v0
	v_addc_co_u32_e32 v6, vcc, v1, v3, vcc
	global_load_ubyte v7, v[5:6], off
	v_add_co_u32_e32 v5, vcc, s6, v35
	s_add_u32 s6, s6, 1
	v_addc_co_u32_e32 v6, vcc, v36, v3, vcc
	s_addc_u32 s7, s7, 0
	v_cmp_eq_u32_e32 vcc, s6, v2
	s_or_b64 s[4:5], vcc, s[4:5]
	s_waitcnt vmcnt(0)
	global_store_byte v[5:6], v7, off
	s_andn2_b64 exec, exec, s[4:5]
	s_cbranch_execnz .LBB2_577
; %bb.578:                              ;   in Loop: Header=BB2_13 Depth=1
	s_or_b64 exec, exec, s[4:5]
	s_andn2_b64 vcc, exec, s[74:75]
	s_cbranch_vccnz .LBB2_702
; %bb.579:                              ;   in Loop: Header=BB2_13 Depth=1
	v_mov_b32_e32 v2, v35
	v_xor_b32_e32 v8, 0x3fb0bb5f, v4
	v_add_u32_e32 v9, 4, v4
	v_mov_b32_e32 v10, 0x58
	v_mov_b32_e32 v7, 0
	s_mov_b64 s[12:13], 0
	s_mov_b32 s40, 0
	v_mov_b32_e32 v3, v36
	s_branch .LBB2_584
.LBB2_580:                              ;   in Loop: Header=BB2_584 Depth=2
	s_or_b64 exec, exec, s[22:23]
	s_and_b64 s[4:5], vcc, s[4:5]
	s_and_b64 s[6:7], s[4:5], exec
.LBB2_581:                              ;   in Loop: Header=BB2_584 Depth=2
	s_or_b64 exec, exec, s[18:19]
	s_and_b64 s[4:5], s[6:7], exec
.LBB2_582:                              ;   in Loop: Header=BB2_584 Depth=2
	s_or_b64 exec, exec, s[16:17]
	s_and_b64 s[4:5], s[4:5], exec
.LBB2_583:                              ;   in Loop: Header=BB2_584 Depth=2
	s_or_b64 exec, exec, s[14:15]
	s_add_i32 s40, s40, 1
	s_cmp_eq_u32 s40, s66
	s_cselect_b64 s[6:7], -1, 0
	s_xor_b64 s[4:5], s[4:5], -1
	s_or_b64 s[4:5], s[4:5], s[6:7]
	s_and_b64 s[4:5], exec, s[4:5]
	s_or_b64 s[12:13], s[4:5], s[12:13]
	v_mov_b32_e32 v10, v13
	s_andn2_b64 exec, exec, s[12:13]
	s_cbranch_execz .LBB2_701
.LBB2_584:                              ;   Parent Loop BB2_13 Depth=1
                                        ; =>  This Loop Header: Depth=2
                                        ;       Child Loop BB2_590 Depth 3
                                        ;       Child Loop BB2_609 Depth 3
	;; [unrolled: 1-line block ×3, first 2 shown]
                                        ;         Child Loop BB2_620 Depth 4
                                        ;       Child Loop BB2_634 Depth 3
                                        ;       Child Loop BB2_653 Depth 3
	;; [unrolled: 1-line block ×3, first 2 shown]
                                        ;         Child Loop BB2_664 Depth 4
	v_and_b32_e32 v11, 3, v2
	v_cmp_ne_u32_e32 vcc, 0, v11
                                        ; implicit-def: $vgpr16
	s_and_saveexec_b64 s[4:5], vcc
	s_xor_b64 s[6:7], exec, s[4:5]
	s_cbranch_execz .LBB2_607
; %bb.585:                              ;   in Loop: Header=BB2_584 Depth=2
	v_cmp_gt_i32_e64 s[4:5], 3, v11
	v_mov_b32_e32 v5, 0
	s_and_saveexec_b64 s[14:15], s[4:5]
	s_cbranch_execz .LBB2_589
; %bb.586:                              ;   in Loop: Header=BB2_584 Depth=2
	v_cmp_ne_u32_e64 s[4:5], 2, v11
	v_mov_b32_e32 v0, 0
	s_and_saveexec_b64 s[16:17], s[4:5]
	s_cbranch_execz .LBB2_588
; %bb.587:                              ;   in Loop: Header=BB2_584 Depth=2
	global_load_ubyte v0, v[2:3], off offset:2
	s_waitcnt vmcnt(0)
	v_lshlrev_b32_e32 v0, 16, v0
.LBB2_588:                              ;   in Loop: Header=BB2_584 Depth=2
	s_or_b64 exec, exec, s[16:17]
	global_load_ubyte v1, v[2:3], off offset:1
	s_waitcnt vmcnt(0)
	v_lshl_or_b32 v5, v1, 8, v0
.LBB2_589:                              ;   in Loop: Header=BB2_584 Depth=2
	s_or_b64 exec, exec, s[14:15]
	global_load_ubyte v6, v[2:3], off
	v_sub_u32_e32 v12, 4, v11
	v_lshlrev_b32_e32 v15, 3, v11
	v_add_co_u32_e64 v0, s[4:5], v2, v12
	v_add_u32_e32 v13, v4, v11
	s_mov_b64 s[14:15], 0
	v_addc_co_u32_e64 v1, s[4:5], 0, v3, s[4:5]
	v_lshlrev_b32_e32 v17, 3, v12
	v_mov_b32_e32 v14, v8
	s_waitcnt vmcnt(0)
	v_or_b32_e32 v5, v5, v6
	v_lshlrev_b32_e32 v5, v15, v5
.LBB2_590:                              ;   Parent Loop BB2_13 Depth=1
                                        ;     Parent Loop BB2_584 Depth=2
                                        ; =>    This Inner Loop Header: Depth=3
	global_load_dword v12, v[0:1], off
	v_lshrrev_b32_e32 v5, v15, v5
	v_mul_lo_u32 v6, v14, s97
	v_add_co_u32_e64 v0, s[4:5], 4, v0
	v_addc_co_u32_e64 v1, s[4:5], 0, v1, s[4:5]
	v_add_u32_e32 v13, -4, v13
	v_cmp_gt_u32_e64 s[4:5], 8, v13
	s_or_b64 s[14:15], s[4:5], s[14:15]
	s_waitcnt vmcnt(0)
	v_lshl_or_b32 v5, v12, v17, v5
	v_mul_lo_u32 v5, v5, s97
	v_xor_b32_sdwa v5, v5, v5 dst_sel:DWORD dst_unused:UNUSED_PAD src0_sel:BYTE_3 src1_sel:DWORD
	v_mul_lo_u32 v14, v5, s97
	v_mov_b32_e32 v5, v12
	v_xor_b32_e32 v14, v14, v6
	s_andn2_b64 exec, exec, s[14:15]
	s_cbranch_execnz .LBB2_590
; %bb.591:                              ;   in Loop: Header=BB2_584 Depth=2
	s_or_b64 exec, exec, s[14:15]
	v_add_co_u32_e64 v5, s[4:5], -4, v0
	v_addc_co_u32_e64 v6, s[4:5], -1, v1, s[4:5]
	v_add_u32_e32 v18, -4, v13
	v_cmp_ge_u32_e64 s[4:5], v18, v11
                                        ; implicit-def: $vgpr16
	s_and_saveexec_b64 s[14:15], s[4:5]
	s_xor_b64 s[14:15], exec, s[14:15]
	s_cbranch_execz .LBB2_601
; %bb.592:                              ;   in Loop: Header=BB2_584 Depth=2
	v_cmp_lt_i32_e64 s[4:5], 2, v11
	s_mov_b64 s[16:17], 0
                                        ; implicit-def: $vgpr16
	s_and_saveexec_b64 s[18:19], s[4:5]
	s_xor_b64 s[4:5], exec, s[18:19]
	s_cbranch_execnz .LBB2_679
; %bb.593:                              ;   in Loop: Header=BB2_584 Depth=2
	s_andn2_saveexec_b64 s[18:19], s[4:5]
	s_cbranch_execnz .LBB2_680
.LBB2_594:                              ;   in Loop: Header=BB2_584 Depth=2
	s_or_b64 exec, exec, s[18:19]
	v_mov_b32_e32 v19, 0
	s_and_saveexec_b64 s[4:5], s[16:17]
	s_cbranch_execz .LBB2_596
.LBB2_595:                              ;   in Loop: Header=BB2_584 Depth=2
	global_load_ubyte v19, v[5:6], off offset:5
	s_waitcnt vmcnt(0)
	v_lshl_or_b32 v19, v19, 8, v16
.LBB2_596:                              ;   in Loop: Header=BB2_584 Depth=2
	s_or_b64 exec, exec, s[4:5]
	global_load_ubyte v16, v[0:1], off
	v_lshrrev_b32_e32 v15, v15, v12
	v_add_co_u32_e64 v5, s[4:5], v5, v11
	v_addc_co_u32_e64 v6, s[4:5], 0, v6, s[4:5]
	s_mov_b64 s[16:17], 0
	s_waitcnt vmcnt(0)
	v_or_b32_e32 v16, v19, v16
	v_lshl_or_b32 v15, v16, v17, v15
	v_mul_lo_u32 v15, v15, s97
	v_mul_lo_u32 v16, v14, s97
	v_sub_u32_e32 v17, v18, v11
	v_cmp_lt_i32_e64 s[4:5], 1, v17
	v_xor_b32_sdwa v15, v15, v15 dst_sel:DWORD dst_unused:UNUSED_PAD src0_sel:BYTE_3 src1_sel:DWORD
	v_mul_lo_u32 v15, v15, s97
	v_xor_b32_e32 v16, v15, v16
                                        ; implicit-def: $vgpr15
	s_and_saveexec_b64 s[18:19], s[4:5]
	s_xor_b64 s[4:5], exec, s[18:19]
	s_cbranch_execnz .LBB2_681
; %bb.597:                              ;   in Loop: Header=BB2_584 Depth=2
	s_andn2_saveexec_b64 s[18:19], s[4:5]
	s_cbranch_execnz .LBB2_682
.LBB2_598:                              ;   in Loop: Header=BB2_584 Depth=2
	s_or_b64 exec, exec, s[18:19]
	s_and_saveexec_b64 s[4:5], s[16:17]
	s_cbranch_execz .LBB2_600
.LBB2_599:                              ;   in Loop: Header=BB2_584 Depth=2
	global_load_ubyte v5, v[5:6], off offset:4
	s_waitcnt vmcnt(0)
	v_xor_b32_e32 v5, v15, v5
	v_mul_lo_u32 v16, v5, s97
.LBB2_600:                              ;   in Loop: Header=BB2_584 Depth=2
	s_or_b64 exec, exec, s[4:5]
                                        ; implicit-def: $vgpr15
                                        ; implicit-def: $vgpr17
                                        ; implicit-def: $vgpr5_vgpr6
.LBB2_601:                              ;   in Loop: Header=BB2_584 Depth=2
	s_andn2_saveexec_b64 s[14:15], s[14:15]
	s_cbranch_execz .LBB2_670
; %bb.602:                              ;   in Loop: Header=BB2_584 Depth=2
	v_cmp_lt_i32_e64 s[4:5], 5, v13
	s_mov_b64 s[16:17], 0
                                        ; implicit-def: $vgpr16
	s_and_saveexec_b64 s[18:19], s[4:5]
	s_xor_b64 s[4:5], exec, s[18:19]
	s_cbranch_execnz .LBB2_683
; %bb.603:                              ;   in Loop: Header=BB2_584 Depth=2
	s_andn2_saveexec_b64 s[18:19], s[4:5]
	s_cbranch_execnz .LBB2_684
.LBB2_604:                              ;   in Loop: Header=BB2_584 Depth=2
	s_or_b64 exec, exec, s[18:19]
	v_mov_b32_e32 v5, 0
	s_and_saveexec_b64 s[4:5], s[16:17]
	s_cbranch_execz .LBB2_606
.LBB2_605:                              ;   in Loop: Header=BB2_584 Depth=2
	global_load_ubyte v0, v[0:1], off
	s_waitcnt vmcnt(0)
	v_or_b32_e32 v5, v16, v0
.LBB2_606:                              ;   in Loop: Header=BB2_584 Depth=2
	s_or_b64 exec, exec, s[4:5]
	v_lshrrev_b32_e32 v0, v15, v12
	v_lshl_or_b32 v0, v5, v17, v0
	v_xor_b32_e32 v0, v0, v14
	v_mul_lo_u32 v16, v0, s97
	s_or_b64 exec, exec, s[14:15]
.LBB2_607:                              ;   in Loop: Header=BB2_584 Depth=2
	s_andn2_saveexec_b64 s[6:7], s[6:7]
	s_cbranch_execz .LBB2_615
.LBB2_608:                              ;   in Loop: Header=BB2_584 Depth=2
	v_mov_b32_e32 v0, v2
	s_mov_b64 s[14:15], 0
	v_mov_b32_e32 v5, v9
	v_mov_b32_e32 v1, v3
	;; [unrolled: 1-line block ×3, first 2 shown]
.LBB2_609:                              ;   Parent Loop BB2_13 Depth=1
                                        ;     Parent Loop BB2_584 Depth=2
                                        ; =>    This Inner Loop Header: Depth=3
	global_load_dword v6, v[0:1], off
	v_mul_lo_u32 v12, v16, s97
	v_add_co_u32_e64 v0, s[4:5], 4, v0
	v_addc_co_u32_e64 v1, s[4:5], 0, v1, s[4:5]
	v_add_u32_e32 v5, -4, v5
	v_cmp_gt_u32_e64 s[4:5], 8, v5
	s_or_b64 s[14:15], s[4:5], s[14:15]
	s_waitcnt vmcnt(0)
	v_mul_lo_u32 v6, v6, s97
	v_xor_b32_sdwa v6, v6, v6 dst_sel:DWORD dst_unused:UNUSED_PAD src0_sel:BYTE_3 src1_sel:DWORD
	v_mul_lo_u32 v6, v6, s97
	v_xor_b32_e32 v16, v6, v12
	s_andn2_b64 exec, exec, s[14:15]
	s_cbranch_execnz .LBB2_609
; %bb.610:                              ;   in Loop: Header=BB2_584 Depth=2
	s_or_b64 exec, exec, s[14:15]
	v_cmp_lt_i32_e64 s[4:5], 5, v5
	s_mov_b64 s[14:15], 0
                                        ; implicit-def: $vgpr6
	s_and_saveexec_b64 s[16:17], s[4:5]
	s_xor_b64 s[16:17], exec, s[16:17]
	s_cbranch_execnz .LBB2_671
; %bb.611:                              ;   in Loop: Header=BB2_584 Depth=2
	s_andn2_saveexec_b64 s[16:17], s[16:17]
	s_cbranch_execnz .LBB2_674
.LBB2_612:                              ;   in Loop: Header=BB2_584 Depth=2
	s_or_b64 exec, exec, s[16:17]
	s_and_saveexec_b64 s[4:5], s[14:15]
	s_cbranch_execz .LBB2_614
.LBB2_613:                              ;   in Loop: Header=BB2_584 Depth=2
	global_load_ubyte v0, v[0:1], off
	s_waitcnt vmcnt(0)
	v_xor_b32_e32 v0, v6, v0
	v_mul_lo_u32 v16, v0, s97
.LBB2_614:                              ;   in Loop: Header=BB2_584 Depth=2
	s_or_b64 exec, exec, s[4:5]
.LBB2_615:                              ;   in Loop: Header=BB2_584 Depth=2
	s_or_b64 exec, exec, s[6:7]
	v_lshrrev_b32_e32 v0, 13, v16
	v_xor_b32_e32 v0, v0, v16
	v_mul_lo_u32 v0, v0, s97
	s_mov_b64 s[16:17], -1
	v_lshrrev_b32_e32 v1, 15, v0
	v_xor_b32_e32 v0, v1, v0
	buffer_load_dword v1, off, s[0:3], 0 offset:88 ; 4-byte Folded Reload
	s_waitcnt vmcnt(0)
	v_mul_hi_u32 v1, v0, v1
	v_mul_lo_u32 v1, v1, s66
	v_sub_u32_e32 v0, v0, v1
	v_subrev_u32_e32 v1, s66, v0
	v_cmp_le_u32_e64 s[4:5], s66, v0
	v_cndmask_b32_e64 v0, v0, v1, s[4:5]
	v_subrev_u32_e32 v1, s66, v0
	v_cmp_le_u32_e64 s[4:5], s66, v0
	v_cndmask_b32_e64 v5, v0, v1, s[4:5]
	v_mad_u64_u32 v[0:1], s[4:5], v5, 24, v[33:34]
	global_load_dword v6, v[0:1], off offset:8
	s_waitcnt vmcnt(0)
	v_cmp_ne_u32_e64 s[4:5], -1, v6
	s_and_saveexec_b64 s[6:7], s[4:5]
	s_cbranch_execz .LBB2_627
; %bb.616:                              ;   in Loop: Header=BB2_584 Depth=2
	s_mov_b64 s[14:15], 0
                                        ; implicit-def: $sgpr16_sgpr17
	s_branch .LBB2_618
.LBB2_617:                              ;   in Loop: Header=BB2_618 Depth=3
	s_or_b64 exec, exec, s[22:23]
	s_xor_b64 s[4:5], s[18:19], -1
	s_and_b64 s[18:19], exec, s[20:21]
	s_or_b64 s[14:15], s[18:19], s[14:15]
	s_andn2_b64 s[16:17], s[16:17], exec
	s_and_b64 s[4:5], s[4:5], exec
	s_or_b64 s[16:17], s[16:17], s[4:5]
	s_andn2_b64 exec, exec, s[14:15]
	s_cbranch_execz .LBB2_626
.LBB2_618:                              ;   Parent Loop BB2_13 Depth=1
                                        ;     Parent Loop BB2_584 Depth=2
                                        ; =>    This Loop Header: Depth=3
                                        ;         Child Loop BB2_620 Depth 4
	global_load_dwordx2 v[0:1], v[0:1], off
	s_mov_b64 s[20:21], 0
	s_mov_b64 s[26:27], 0
                                        ; implicit-def: $sgpr18_sgpr19
                                        ; implicit-def: $sgpr24_sgpr25
                                        ; implicit-def: $sgpr22_sgpr23
	s_branch .LBB2_620
.LBB2_619:                              ;   in Loop: Header=BB2_620 Depth=4
	s_or_b64 exec, exec, s[28:29]
	s_xor_b64 s[4:5], s[22:23], -1
	s_and_b64 s[28:29], exec, s[24:25]
	s_or_b64 s[20:21], s[28:29], s[20:21]
	s_andn2_b64 s[18:19], s[18:19], exec
	s_and_b64 s[4:5], s[4:5], exec
	s_or_b64 s[18:19], s[18:19], s[4:5]
	s_andn2_b64 exec, exec, s[20:21]
	s_cbranch_execz .LBB2_622
.LBB2_620:                              ;   Parent Loop BB2_13 Depth=1
                                        ;     Parent Loop BB2_584 Depth=2
                                        ;       Parent Loop BB2_618 Depth=3
                                        ; =>      This Inner Loop Header: Depth=4
	v_mov_b32_e32 v14, s27
	s_waitcnt vmcnt(0)
	v_add_co_u32_e64 v12, s[4:5], s26, v0
	v_addc_co_u32_e64 v13, s[4:5], v1, v14, s[4:5]
	flat_load_ubyte v15, v[12:13]
	v_add_co_u32_e64 v12, s[4:5], s26, v2
	v_addc_co_u32_e64 v13, s[4:5], v3, v14, s[4:5]
	global_load_ubyte v12, v[12:13], off
	s_or_b64 s[22:23], s[22:23], exec
	s_or_b64 s[24:25], s[24:25], exec
	s_waitcnt vmcnt(0) lgkmcnt(0)
	v_cmp_eq_u16_e64 s[4:5], v15, v12
	s_and_saveexec_b64 s[28:29], s[4:5]
	s_cbranch_execz .LBB2_619
; %bb.621:                              ;   in Loop: Header=BB2_620 Depth=4
	s_add_u32 s26, s26, 1
	v_cmp_eq_u32_e64 s[4:5], s26, v4
	s_addc_u32 s27, s27, 0
	s_andn2_b64 s[24:25], s[24:25], exec
	s_and_b64 s[4:5], s[4:5], exec
	s_andn2_b64 s[22:23], s[22:23], exec
	s_or_b64 s[24:25], s[24:25], s[4:5]
	s_branch .LBB2_619
.LBB2_622:                              ;   in Loop: Header=BB2_618 Depth=3
	s_or_b64 exec, exec, s[20:21]
	s_mov_b64 s[20:21], -1
	s_mov_b64 s[4:5], -1
	s_and_saveexec_b64 s[22:23], s[18:19]
	s_xor_b64 s[18:19], exec, s[22:23]
; %bb.623:                              ;   in Loop: Header=BB2_618 Depth=3
	v_cmp_ne_u32_e64 s[4:5], v6, v4
	s_orn2_b64 s[4:5], s[4:5], exec
; %bb.624:                              ;   in Loop: Header=BB2_618 Depth=3
	s_or_b64 exec, exec, s[18:19]
	s_mov_b64 s[18:19], -1
                                        ; implicit-def: $vgpr0_vgpr1
                                        ; implicit-def: $vgpr6
	s_and_saveexec_b64 s[22:23], s[4:5]
	s_cbranch_execz .LBB2_617
; %bb.625:                              ;   in Loop: Header=BB2_618 Depth=3
	v_add_u32_e32 v0, 1, v5
	v_cmp_ne_u32_e64 s[4:5], s66, v0
	v_cndmask_b32_e64 v5, 0, v0, s[4:5]
	v_mad_u64_u32 v[0:1], s[4:5], v5, 24, v[33:34]
	s_xor_b64 s[18:19], exec, -1
	global_load_dword v6, v[0:1], off offset:8
	s_waitcnt vmcnt(0)
	v_cmp_eq_u32_e64 s[4:5], -1, v6
	s_orn2_b64 s[20:21], s[4:5], exec
	s_branch .LBB2_617
.LBB2_626:                              ;   in Loop: Header=BB2_584 Depth=2
	s_or_b64 exec, exec, s[14:15]
	s_orn2_b64 s[16:17], s[16:17], exec
.LBB2_627:                              ;   in Loop: Header=BB2_584 Depth=2
	s_or_b64 exec, exec, s[6:7]
	s_mov_b64 s[4:5], 0
	v_mov_b32_e32 v13, 0x52
	s_and_saveexec_b64 s[14:15], s[16:17]
	s_cbranch_execz .LBB2_583
; %bb.628:                              ;   in Loop: Header=BB2_584 Depth=2
	global_store_dwordx3 v[0:1], v[2:4], off
	global_store_byte v[0:1], v54, off offset:16
                                        ; implicit-def: $vgpr15
	s_and_saveexec_b64 s[4:5], vcc
	s_xor_b64 s[4:5], exec, s[4:5]
	s_cbranch_execz .LBB2_651
; %bb.629:                              ;   in Loop: Header=BB2_584 Depth=2
	v_cmp_gt_i32_e32 vcc, 3, v11
	v_mov_b32_e32 v5, 0
	s_and_saveexec_b64 s[6:7], vcc
	s_cbranch_execz .LBB2_633
; %bb.630:                              ;   in Loop: Header=BB2_584 Depth=2
	v_cmp_ne_u32_e32 vcc, 2, v11
	v_mov_b32_e32 v0, 0
	s_and_saveexec_b64 s[16:17], vcc
	s_cbranch_execz .LBB2_632
; %bb.631:                              ;   in Loop: Header=BB2_584 Depth=2
	global_load_ubyte v0, v[2:3], off offset:2
	s_waitcnt vmcnt(0)
	v_lshlrev_b32_e32 v0, 16, v0
.LBB2_632:                              ;   in Loop: Header=BB2_584 Depth=2
	s_or_b64 exec, exec, s[16:17]
	global_load_ubyte v1, v[2:3], off offset:1
	s_waitcnt vmcnt(0)
	v_lshl_or_b32 v5, v1, 8, v0
.LBB2_633:                              ;   in Loop: Header=BB2_584 Depth=2
	s_or_b64 exec, exec, s[6:7]
	global_load_ubyte v6, v[2:3], off
	v_sub_u32_e32 v12, 4, v11
	v_lshlrev_b32_e32 v16, 3, v11
	v_add_co_u32_e32 v0, vcc, v2, v12
	v_add_u32_e32 v13, v4, v11
	s_mov_b64 s[6:7], 0
	v_addc_co_u32_e32 v1, vcc, 0, v3, vcc
	v_lshlrev_b32_e32 v17, 3, v12
	v_mov_b32_e32 v14, v8
	s_waitcnt vmcnt(0)
	v_or_b32_e32 v5, v5, v6
	v_lshlrev_b32_e32 v5, v16, v5
.LBB2_634:                              ;   Parent Loop BB2_13 Depth=1
                                        ;     Parent Loop BB2_584 Depth=2
                                        ; =>    This Inner Loop Header: Depth=3
	global_load_dword v12, v[0:1], off
	v_lshrrev_b32_e32 v5, v16, v5
	v_mul_lo_u32 v6, v14, s97
	v_add_co_u32_e32 v0, vcc, 4, v0
	v_addc_co_u32_e32 v1, vcc, 0, v1, vcc
	v_add_u32_e32 v13, -4, v13
	v_cmp_gt_u32_e32 vcc, 8, v13
	s_or_b64 s[6:7], vcc, s[6:7]
	s_waitcnt vmcnt(0)
	v_lshl_or_b32 v5, v12, v17, v5
	v_mul_lo_u32 v5, v5, s97
	v_xor_b32_sdwa v5, v5, v5 dst_sel:DWORD dst_unused:UNUSED_PAD src0_sel:BYTE_3 src1_sel:DWORD
	v_mul_lo_u32 v14, v5, s97
	v_mov_b32_e32 v5, v12
	v_xor_b32_e32 v14, v14, v6
	s_andn2_b64 exec, exec, s[6:7]
	s_cbranch_execnz .LBB2_634
; %bb.635:                              ;   in Loop: Header=BB2_584 Depth=2
	s_or_b64 exec, exec, s[6:7]
	v_add_co_u32_e32 v5, vcc, -4, v0
	v_addc_co_u32_e32 v6, vcc, -1, v1, vcc
	v_add_u32_e32 v18, -4, v13
	v_cmp_ge_u32_e32 vcc, v18, v11
                                        ; implicit-def: $vgpr15
	s_and_saveexec_b64 s[6:7], vcc
	s_xor_b64 s[6:7], exec, s[6:7]
	s_cbranch_execz .LBB2_645
; %bb.636:                              ;   in Loop: Header=BB2_584 Depth=2
	v_cmp_lt_i32_e32 vcc, 2, v11
	s_mov_b64 s[16:17], 0
                                        ; implicit-def: $vgpr15
	s_and_saveexec_b64 s[18:19], vcc
	s_xor_b64 s[18:19], exec, s[18:19]
	s_cbranch_execnz .LBB2_690
; %bb.637:                              ;   in Loop: Header=BB2_584 Depth=2
	s_andn2_saveexec_b64 s[18:19], s[18:19]
	s_cbranch_execnz .LBB2_691
.LBB2_638:                              ;   in Loop: Header=BB2_584 Depth=2
	s_or_b64 exec, exec, s[18:19]
	v_mov_b32_e32 v19, 0
	s_and_saveexec_b64 s[18:19], s[16:17]
	s_cbranch_execz .LBB2_640
.LBB2_639:                              ;   in Loop: Header=BB2_584 Depth=2
	global_load_ubyte v19, v[5:6], off offset:5
	s_waitcnt vmcnt(0)
	v_lshl_or_b32 v19, v19, 8, v15
.LBB2_640:                              ;   in Loop: Header=BB2_584 Depth=2
	s_or_b64 exec, exec, s[18:19]
	global_load_ubyte v15, v[0:1], off
	v_lshrrev_b32_e32 v16, v16, v12
	v_add_co_u32_e32 v5, vcc, v5, v11
	v_addc_co_u32_e32 v6, vcc, 0, v6, vcc
	s_mov_b64 s[16:17], 0
	s_waitcnt vmcnt(0)
	v_or_b32_e32 v15, v19, v15
	v_lshl_or_b32 v15, v15, v17, v16
	v_mul_lo_u32 v15, v15, s97
	v_mul_lo_u32 v17, v14, s97
	v_sub_u32_e32 v16, v18, v11
	v_cmp_lt_i32_e32 vcc, 1, v16
	v_xor_b32_sdwa v15, v15, v15 dst_sel:DWORD dst_unused:UNUSED_PAD src0_sel:BYTE_3 src1_sel:DWORD
	v_mul_lo_u32 v15, v15, s97
                                        ; implicit-def: $vgpr11
	v_xor_b32_e32 v15, v15, v17
	s_and_saveexec_b64 s[18:19], vcc
	s_xor_b64 s[18:19], exec, s[18:19]
	s_cbranch_execnz .LBB2_692
; %bb.641:                              ;   in Loop: Header=BB2_584 Depth=2
	s_andn2_saveexec_b64 s[18:19], s[18:19]
	s_cbranch_execnz .LBB2_695
.LBB2_642:                              ;   in Loop: Header=BB2_584 Depth=2
	s_or_b64 exec, exec, s[18:19]
	s_and_saveexec_b64 s[18:19], s[16:17]
	s_cbranch_execz .LBB2_644
.LBB2_643:                              ;   in Loop: Header=BB2_584 Depth=2
	global_load_ubyte v5, v[5:6], off offset:4
	s_waitcnt vmcnt(0)
	v_xor_b32_e32 v5, v11, v5
	v_mul_lo_u32 v15, v5, s97
.LBB2_644:                              ;   in Loop: Header=BB2_584 Depth=2
	s_or_b64 exec, exec, s[18:19]
                                        ; implicit-def: $vgpr16
                                        ; implicit-def: $vgpr17
                                        ; implicit-def: $vgpr5_vgpr6
.LBB2_645:                              ;   in Loop: Header=BB2_584 Depth=2
	s_andn2_saveexec_b64 s[6:7], s[6:7]
	s_cbranch_execz .LBB2_685
; %bb.646:                              ;   in Loop: Header=BB2_584 Depth=2
	v_cmp_lt_i32_e32 vcc, 5, v13
	s_mov_b64 s[16:17], 0
                                        ; implicit-def: $vgpr11
	s_and_saveexec_b64 s[18:19], vcc
	s_xor_b64 s[18:19], exec, s[18:19]
	s_cbranch_execnz .LBB2_696
; %bb.647:                              ;   in Loop: Header=BB2_584 Depth=2
	s_andn2_saveexec_b64 s[18:19], s[18:19]
	s_cbranch_execnz .LBB2_697
.LBB2_648:                              ;   in Loop: Header=BB2_584 Depth=2
	s_or_b64 exec, exec, s[18:19]
	v_mov_b32_e32 v5, 0
	s_and_saveexec_b64 s[18:19], s[16:17]
	s_cbranch_execz .LBB2_650
.LBB2_649:                              ;   in Loop: Header=BB2_584 Depth=2
	global_load_ubyte v0, v[0:1], off
	s_waitcnt vmcnt(0)
	v_or_b32_e32 v5, v11, v0
.LBB2_650:                              ;   in Loop: Header=BB2_584 Depth=2
	s_or_b64 exec, exec, s[18:19]
	v_lshrrev_b32_e32 v0, v16, v12
	v_lshl_or_b32 v0, v5, v17, v0
	v_xor_b32_e32 v0, v0, v14
	v_mul_lo_u32 v15, v0, s97
	s_or_b64 exec, exec, s[6:7]
.LBB2_651:                              ;   in Loop: Header=BB2_584 Depth=2
	s_andn2_saveexec_b64 s[4:5], s[4:5]
	s_cbranch_execz .LBB2_659
.LBB2_652:                              ;   in Loop: Header=BB2_584 Depth=2
	v_mov_b32_e32 v0, v2
	s_mov_b64 s[6:7], 0
	v_mov_b32_e32 v5, v9
	v_mov_b32_e32 v1, v3
	;; [unrolled: 1-line block ×3, first 2 shown]
.LBB2_653:                              ;   Parent Loop BB2_13 Depth=1
                                        ;     Parent Loop BB2_584 Depth=2
                                        ; =>    This Inner Loop Header: Depth=3
	global_load_dword v6, v[0:1], off
	v_mul_lo_u32 v11, v15, s97
	v_add_co_u32_e32 v0, vcc, 4, v0
	v_addc_co_u32_e32 v1, vcc, 0, v1, vcc
	v_add_u32_e32 v5, -4, v5
	v_cmp_gt_u32_e32 vcc, 8, v5
	s_or_b64 s[6:7], vcc, s[6:7]
	s_waitcnt vmcnt(0)
	v_mul_lo_u32 v6, v6, s97
	v_xor_b32_sdwa v6, v6, v6 dst_sel:DWORD dst_unused:UNUSED_PAD src0_sel:BYTE_3 src1_sel:DWORD
	v_mul_lo_u32 v6, v6, s97
	v_xor_b32_e32 v15, v6, v11
	s_andn2_b64 exec, exec, s[6:7]
	s_cbranch_execnz .LBB2_653
; %bb.654:                              ;   in Loop: Header=BB2_584 Depth=2
	s_or_b64 exec, exec, s[6:7]
	v_cmp_lt_i32_e32 vcc, 5, v5
	s_mov_b64 s[6:7], 0
                                        ; implicit-def: $vgpr6
	s_and_saveexec_b64 s[16:17], vcc
	s_xor_b64 s[16:17], exec, s[16:17]
	s_cbranch_execnz .LBB2_686
; %bb.655:                              ;   in Loop: Header=BB2_584 Depth=2
	s_andn2_saveexec_b64 s[16:17], s[16:17]
	s_cbranch_execnz .LBB2_689
.LBB2_656:                              ;   in Loop: Header=BB2_584 Depth=2
	s_or_b64 exec, exec, s[16:17]
	s_and_saveexec_b64 s[16:17], s[6:7]
	s_cbranch_execz .LBB2_658
.LBB2_657:                              ;   in Loop: Header=BB2_584 Depth=2
	global_load_ubyte v0, v[0:1], off
	s_waitcnt vmcnt(0)
	v_xor_b32_e32 v0, v6, v0
	v_mul_lo_u32 v15, v0, s97
.LBB2_658:                              ;   in Loop: Header=BB2_584 Depth=2
	s_or_b64 exec, exec, s[16:17]
.LBB2_659:                              ;   in Loop: Header=BB2_584 Depth=2
	s_or_b64 exec, exec, s[4:5]
	v_lshrrev_b32_e32 v0, 13, v15
	v_xor_b32_e32 v0, v0, v15
	v_mul_lo_u32 v0, v0, s97
	v_mov_b32_e32 v13, 0x58
	v_lshrrev_b32_e32 v1, 15, v0
	v_xor_b32_e32 v0, v1, v0
	buffer_load_dword v1, off, s[0:3], 0 offset:132 ; 4-byte Folded Reload
	s_waitcnt vmcnt(0)
	v_mul_hi_u32 v1, v0, v1
	v_mul_lo_u32 v1, v1, v42
	v_sub_u32_e32 v0, v0, v1
	v_sub_u32_e32 v1, v0, v42
	v_cmp_ge_u32_e32 vcc, v0, v42
	v_cndmask_b32_e32 v0, v0, v1, vcc
	v_sub_u32_e32 v1, v0, v42
	v_cmp_ge_u32_e32 vcc, v0, v42
	v_cndmask_b32_e32 v11, v0, v1, vcc
	v_mad_u64_u32 v[5:6], s[4:5], v11, 56, v[40:41]
	s_mov_b64 s[4:5], 0
	global_load_dword v12, v[5:6], off offset:8
	s_waitcnt vmcnt(0)
	v_cmp_ne_u32_e32 vcc, -1, v12
	s_and_saveexec_b64 s[16:17], vcc
	s_cbranch_execz .LBB2_582
; %bb.660:                              ;   in Loop: Header=BB2_584 Depth=2
	s_mov_b64 s[6:7], 0
                                        ; implicit-def: $sgpr4_sgpr5
                                        ; implicit-def: $sgpr18_sgpr19
	s_branch .LBB2_662
.LBB2_661:                              ;   in Loop: Header=BB2_662 Depth=3
	s_or_b64 exec, exec, s[20:21]
	s_and_b64 s[20:21], exec, s[22:23]
	s_or_b64 s[6:7], s[20:21], s[6:7]
	s_andn2_b64 s[4:5], s[4:5], exec
	s_and_b64 s[20:21], s[18:19], exec
	s_or_b64 s[4:5], s[4:5], s[20:21]
	s_andn2_b64 exec, exec, s[6:7]
	s_cbranch_execz .LBB2_675
.LBB2_662:                              ;   Parent Loop BB2_13 Depth=1
                                        ;     Parent Loop BB2_584 Depth=2
                                        ; =>    This Loop Header: Depth=3
                                        ;         Child Loop BB2_664 Depth 4
	v_mov_b32_e32 v0, v5
	v_mov_b32_e32 v1, v6
	global_load_dwordx2 v[5:6], v[5:6], off
	s_mov_b64 s[22:23], 0
	s_mov_b64 s[28:29], 0
                                        ; implicit-def: $sgpr20_sgpr21
                                        ; implicit-def: $sgpr26_sgpr27
                                        ; implicit-def: $sgpr24_sgpr25
	s_branch .LBB2_664
.LBB2_663:                              ;   in Loop: Header=BB2_664 Depth=4
	s_or_b64 exec, exec, s[30:31]
	s_xor_b64 s[30:31], s[24:25], -1
	s_and_b64 s[42:43], exec, s[26:27]
	s_or_b64 s[22:23], s[42:43], s[22:23]
	s_andn2_b64 s[20:21], s[20:21], exec
	s_and_b64 s[30:31], s[30:31], exec
	s_or_b64 s[20:21], s[20:21], s[30:31]
	s_andn2_b64 exec, exec, s[22:23]
	s_cbranch_execz .LBB2_666
.LBB2_664:                              ;   Parent Loop BB2_13 Depth=1
                                        ;     Parent Loop BB2_584 Depth=2
                                        ;       Parent Loop BB2_662 Depth=3
                                        ; =>      This Inner Loop Header: Depth=4
	v_mov_b32_e32 v15, s29
	s_waitcnt vmcnt(0)
	v_add_co_u32_e32 v13, vcc, s28, v5
	v_addc_co_u32_e32 v14, vcc, v6, v15, vcc
	flat_load_ubyte v16, v[13:14]
	v_add_co_u32_e32 v13, vcc, s28, v2
	v_addc_co_u32_e32 v14, vcc, v3, v15, vcc
	global_load_ubyte v13, v[13:14], off
	s_or_b64 s[24:25], s[24:25], exec
	s_or_b64 s[26:27], s[26:27], exec
	s_waitcnt vmcnt(0) lgkmcnt(0)
	v_cmp_eq_u16_e32 vcc, v16, v13
	s_and_saveexec_b64 s[30:31], vcc
	s_cbranch_execz .LBB2_663
; %bb.665:                              ;   in Loop: Header=BB2_664 Depth=4
	s_add_u32 s28, s28, 1
	v_cmp_eq_u32_e32 vcc, s28, v4
	s_addc_u32 s29, s29, 0
	s_andn2_b64 s[26:27], s[26:27], exec
	s_and_b64 s[42:43], vcc, exec
	s_andn2_b64 s[24:25], s[24:25], exec
	s_or_b64 s[26:27], s[26:27], s[42:43]
	s_branch .LBB2_663
.LBB2_666:                              ;   in Loop: Header=BB2_662 Depth=3
	s_or_b64 exec, exec, s[22:23]
	s_mov_b64 s[22:23], -1
	s_mov_b64 s[24:25], -1
	s_and_saveexec_b64 s[26:27], s[20:21]
	s_xor_b64 s[20:21], exec, s[26:27]
; %bb.667:                              ;   in Loop: Header=BB2_662 Depth=3
	v_cmp_ne_u32_e32 vcc, v12, v4
	s_orn2_b64 s[24:25], vcc, exec
; %bb.668:                              ;   in Loop: Header=BB2_662 Depth=3
	s_or_b64 exec, exec, s[20:21]
	s_or_b64 s[18:19], s[18:19], exec
                                        ; implicit-def: $vgpr5_vgpr6
                                        ; implicit-def: $vgpr12
	s_and_saveexec_b64 s[20:21], s[24:25]
	s_cbranch_execz .LBB2_661
; %bb.669:                              ;   in Loop: Header=BB2_662 Depth=3
	v_add_u32_e32 v5, 1, v11
	v_cmp_ne_u32_e32 vcc, v5, v42
	v_cndmask_b32_e32 v11, 0, v5, vcc
	v_mad_u64_u32 v[5:6], s[22:23], v11, 56, v[40:41]
	s_andn2_b64 s[18:19], s[18:19], exec
	global_load_dword v12, v[5:6], off offset:8
	s_waitcnt vmcnt(0)
	v_cmp_eq_u32_e32 vcc, -1, v12
	s_orn2_b64 s[22:23], vcc, exec
	s_branch .LBB2_661
.LBB2_670:                              ;   in Loop: Header=BB2_584 Depth=2
	s_or_b64 exec, exec, s[14:15]
	s_andn2_saveexec_b64 s[6:7], s[6:7]
	s_cbranch_execnz .LBB2_608
	s_branch .LBB2_615
.LBB2_671:                              ;   in Loop: Header=BB2_584 Depth=2
	v_cmp_lt_i32_e64 s[4:5], 6, v5
	v_mov_b32_e32 v6, v16
	s_and_saveexec_b64 s[14:15], s[4:5]
	s_cbranch_execz .LBB2_673
; %bb.672:                              ;   in Loop: Header=BB2_584 Depth=2
	global_load_ubyte v6, v[0:1], off offset:2
	s_waitcnt vmcnt(0)
	v_lshlrev_b32_e32 v6, 16, v6
	v_xor_b32_e32 v6, v6, v16
.LBB2_673:                              ;   in Loop: Header=BB2_584 Depth=2
	s_or_b64 exec, exec, s[14:15]
	global_load_ubyte v12, v[0:1], off offset:1
	s_mov_b64 s[14:15], exec
	s_waitcnt vmcnt(0)
	v_lshlrev_b32_e32 v12, 8, v12
	v_xor_b32_e32 v6, v12, v6
	s_andn2_saveexec_b64 s[16:17], s[16:17]
	s_cbranch_execz .LBB2_612
.LBB2_674:                              ;   in Loop: Header=BB2_584 Depth=2
	v_cmp_eq_u32_e64 s[4:5], 5, v5
	s_andn2_b64 s[14:15], s[14:15], exec
	s_and_b64 s[4:5], s[4:5], exec
	s_or_b64 s[14:15], s[14:15], s[4:5]
	v_mov_b32_e32 v6, v16
	s_or_b64 exec, exec, s[16:17]
	s_and_saveexec_b64 s[4:5], s[14:15]
	s_cbranch_execnz .LBB2_613
	s_branch .LBB2_614
.LBB2_675:                              ;   in Loop: Header=BB2_584 Depth=2
	s_or_b64 exec, exec, s[6:7]
	s_mov_b64 s[6:7], 0
	v_mov_b32_e32 v13, 0x58
	s_and_saveexec_b64 s[18:19], s[4:5]
	s_xor_b64 s[18:19], exec, s[18:19]
	s_cbranch_execz .LBB2_581
; %bb.676:                              ;   in Loop: Header=BB2_584 Depth=2
	global_load_ubyte v13, v[0:1], off offset:48
	s_mov_b64 s[20:21], 0
	s_waitcnt vmcnt(0)
	v_cmp_ne_u16_e32 vcc, s90, v13
	v_cmp_ne_u16_e64 s[4:5], s98, v13
	v_cmp_lt_i16_e64 s[6:7], s99, v13
	s_and_saveexec_b64 s[22:23], s[6:7]
	s_xor_b64 s[6:7], exec, s[22:23]
	s_cbranch_execnz .LBB2_698
; %bb.677:                              ;   in Loop: Header=BB2_584 Depth=2
	s_andn2_saveexec_b64 s[6:7], s[6:7]
	s_cbranch_execnz .LBB2_699
.LBB2_678:                              ;   in Loop: Header=BB2_584 Depth=2
	s_or_b64 exec, exec, s[6:7]
	s_and_saveexec_b64 s[22:23], s[20:21]
	s_cbranch_execz .LBB2_580
	s_branch .LBB2_700
.LBB2_679:                              ;   in Loop: Header=BB2_584 Depth=2
	global_load_ubyte v16, v[5:6], off offset:6
	s_mov_b64 s[16:17], exec
	s_waitcnt vmcnt(0)
	v_lshlrev_b32_e32 v16, 16, v16
	s_andn2_saveexec_b64 s[18:19], s[4:5]
	s_cbranch_execz .LBB2_594
.LBB2_680:                              ;   in Loop: Header=BB2_584 Depth=2
	v_cmp_eq_u32_e64 s[4:5], 2, v11
	s_andn2_b64 s[16:17], s[16:17], exec
	s_and_b64 s[4:5], s[4:5], exec
	v_mov_b32_e32 v16, 0
	s_or_b64 s[16:17], s[16:17], s[4:5]
	s_or_b64 exec, exec, s[18:19]
	v_mov_b32_e32 v19, 0
	s_and_saveexec_b64 s[4:5], s[16:17]
	s_cbranch_execnz .LBB2_595
	s_branch .LBB2_596
.LBB2_681:                              ;   in Loop: Header=BB2_584 Depth=2
	global_load_ubyte v15, v[5:6], off offset:5
	s_mov_b64 s[16:17], exec
                                        ; implicit-def: $vgpr17
	s_waitcnt vmcnt(0)
	v_lshlrev_b32_e32 v15, 8, v15
	v_xor_b32_e32 v15, v15, v16
	s_andn2_saveexec_b64 s[18:19], s[4:5]
	s_cbranch_execz .LBB2_598
.LBB2_682:                              ;   in Loop: Header=BB2_584 Depth=2
	v_cmp_eq_u32_e64 s[4:5], 1, v17
	s_andn2_b64 s[16:17], s[16:17], exec
	s_and_b64 s[4:5], s[4:5], exec
	s_or_b64 s[16:17], s[16:17], s[4:5]
	v_mov_b32_e32 v15, v16
	s_or_b64 exec, exec, s[18:19]
	s_and_saveexec_b64 s[4:5], s[16:17]
	s_cbranch_execnz .LBB2_599
	s_branch .LBB2_600
.LBB2_683:                              ;   in Loop: Header=BB2_584 Depth=2
	global_load_ubyte v5, v[5:6], off offset:5
	s_mov_b64 s[16:17], exec
	s_waitcnt vmcnt(0)
	v_lshlrev_b32_e32 v16, 8, v5
	s_andn2_saveexec_b64 s[18:19], s[4:5]
	s_cbranch_execz .LBB2_604
.LBB2_684:                              ;   in Loop: Header=BB2_584 Depth=2
	v_cmp_eq_u32_e64 s[4:5], 5, v13
	s_andn2_b64 s[16:17], s[16:17], exec
	s_and_b64 s[4:5], s[4:5], exec
	v_mov_b32_e32 v16, 0
	s_or_b64 s[16:17], s[16:17], s[4:5]
	s_or_b64 exec, exec, s[18:19]
	v_mov_b32_e32 v5, 0
	s_and_saveexec_b64 s[4:5], s[16:17]
	s_cbranch_execnz .LBB2_605
	s_branch .LBB2_606
.LBB2_685:                              ;   in Loop: Header=BB2_584 Depth=2
	s_or_b64 exec, exec, s[6:7]
	s_andn2_saveexec_b64 s[4:5], s[4:5]
	s_cbranch_execnz .LBB2_652
	s_branch .LBB2_659
.LBB2_686:                              ;   in Loop: Header=BB2_584 Depth=2
	v_cmp_lt_i32_e32 vcc, 6, v5
	v_mov_b32_e32 v6, v15
	s_and_saveexec_b64 s[6:7], vcc
	s_cbranch_execz .LBB2_688
; %bb.687:                              ;   in Loop: Header=BB2_584 Depth=2
	global_load_ubyte v6, v[0:1], off offset:2
	s_waitcnt vmcnt(0)
	v_lshlrev_b32_e32 v6, 16, v6
	v_xor_b32_e32 v6, v6, v15
.LBB2_688:                              ;   in Loop: Header=BB2_584 Depth=2
	s_or_b64 exec, exec, s[6:7]
	global_load_ubyte v11, v[0:1], off offset:1
	s_mov_b64 s[6:7], exec
	s_waitcnt vmcnt(0)
	v_lshlrev_b32_e32 v11, 8, v11
	v_xor_b32_e32 v6, v11, v6
	s_andn2_saveexec_b64 s[16:17], s[16:17]
	s_cbranch_execz .LBB2_656
.LBB2_689:                              ;   in Loop: Header=BB2_584 Depth=2
	v_cmp_eq_u32_e32 vcc, 5, v5
	s_andn2_b64 s[6:7], s[6:7], exec
	s_and_b64 s[18:19], vcc, exec
	s_or_b64 s[6:7], s[6:7], s[18:19]
	v_mov_b32_e32 v6, v15
	s_or_b64 exec, exec, s[16:17]
	s_and_saveexec_b64 s[16:17], s[6:7]
	s_cbranch_execnz .LBB2_657
	s_branch .LBB2_658
.LBB2_690:                              ;   in Loop: Header=BB2_584 Depth=2
	global_load_ubyte v15, v[5:6], off offset:6
	s_mov_b64 s[16:17], exec
	s_waitcnt vmcnt(0)
	v_lshlrev_b32_e32 v15, 16, v15
	s_andn2_saveexec_b64 s[18:19], s[18:19]
	s_cbranch_execz .LBB2_638
.LBB2_691:                              ;   in Loop: Header=BB2_584 Depth=2
	v_cmp_eq_u32_e32 vcc, 2, v11
	s_andn2_b64 s[16:17], s[16:17], exec
	s_and_b64 s[20:21], vcc, exec
	v_mov_b32_e32 v15, 0
	s_or_b64 s[16:17], s[16:17], s[20:21]
	s_or_b64 exec, exec, s[18:19]
	v_mov_b32_e32 v19, 0
	s_and_saveexec_b64 s[18:19], s[16:17]
	s_cbranch_execnz .LBB2_639
	s_branch .LBB2_640
.LBB2_692:                              ;   in Loop: Header=BB2_584 Depth=2
	v_cmp_eq_u32_e32 vcc, 2, v16
                                        ; implicit-def: $vgpr11
	s_and_saveexec_b64 s[20:21], vcc
	s_cbranch_execz .LBB2_694
; %bb.693:                              ;   in Loop: Header=BB2_584 Depth=2
	global_load_ubyte v11, v[5:6], off offset:5
	s_mov_b64 s[16:17], exec
	s_waitcnt vmcnt(0)
	v_lshlrev_b32_e32 v11, 8, v11
	v_xor_b32_e32 v11, v11, v15
.LBB2_694:                              ;   in Loop: Header=BB2_584 Depth=2
	s_or_b64 exec, exec, s[20:21]
	s_and_b64 s[16:17], s[16:17], exec
                                        ; implicit-def: $vgpr16
	s_andn2_saveexec_b64 s[18:19], s[18:19]
	s_cbranch_execz .LBB2_642
.LBB2_695:                              ;   in Loop: Header=BB2_584 Depth=2
	v_cmp_eq_u32_e32 vcc, 1, v16
	s_andn2_b64 s[16:17], s[16:17], exec
	s_and_b64 s[20:21], vcc, exec
	s_or_b64 s[16:17], s[16:17], s[20:21]
	v_mov_b32_e32 v11, v15
	s_or_b64 exec, exec, s[18:19]
	s_and_saveexec_b64 s[18:19], s[16:17]
	s_cbranch_execnz .LBB2_643
	s_branch .LBB2_644
.LBB2_696:                              ;   in Loop: Header=BB2_584 Depth=2
	global_load_ubyte v5, v[5:6], off offset:5
	s_mov_b64 s[16:17], exec
	s_waitcnt vmcnt(0)
	v_lshlrev_b32_e32 v11, 8, v5
	s_andn2_saveexec_b64 s[18:19], s[18:19]
	s_cbranch_execz .LBB2_648
.LBB2_697:                              ;   in Loop: Header=BB2_584 Depth=2
	v_cmp_eq_u32_e32 vcc, 5, v13
	s_andn2_b64 s[16:17], s[16:17], exec
	s_and_b64 s[20:21], vcc, exec
	v_mov_b32_e32 v11, 0
	s_or_b64 s[16:17], s[16:17], s[20:21]
	s_or_b64 exec, exec, s[18:19]
	v_mov_b32_e32 v5, 0
	s_and_saveexec_b64 s[18:19], s[16:17]
	s_cbranch_execnz .LBB2_649
	s_branch .LBB2_650
.LBB2_698:                              ;   in Loop: Header=BB2_584 Depth=2
	s_and_b64 s[20:21], s[4:5], exec
	s_andn2_saveexec_b64 s[6:7], s[6:7]
	s_cbranch_execz .LBB2_678
.LBB2_699:                              ;   in Loop: Header=BB2_584 Depth=2
	s_andn2_b64 s[20:21], s[20:21], exec
	s_and_b64 s[22:23], vcc, exec
	s_or_b64 s[20:21], s[20:21], s[22:23]
	s_or_b64 exec, exec, s[6:7]
	s_and_saveexec_b64 s[22:23], s[20:21]
	s_cbranch_execz .LBB2_580
.LBB2_700:                              ;   in Loop: Header=BB2_584 Depth=2
	v_add_co_u32_e64 v0, s[6:7], 1, v2
	v_addc_co_u32_e64 v1, s[6:7], 0, v3, s[6:7]
	v_add_co_u32_e64 v2, s[6:7], v2, v4
	v_addc_co_u32_e64 v3, s[6:7], 0, v3, s[6:7]
	global_store_byte v[2:3], v13, off
	v_cmp_ne_u16_e64 s[6:7], 0, v13
	v_mov_b32_e32 v3, v1
	v_addc_co_u32_e64 v7, s[6:7], 0, v7, s[6:7]
	v_mov_b32_e32 v13, v10
	v_mov_b32_e32 v2, v0
	s_branch .LBB2_580
.LBB2_701:                              ;   in Loop: Header=BB2_13 Depth=1
	s_or_b64 exec, exec, s[12:13]
	v_cmp_eq_u16_sdwa s[4:5], v13, s98 src0_sel:BYTE_0 src1_sel:DWORD
	buffer_load_dword v0, off, s[0:3], 0 offset:160 ; 4-byte Folded Reload
	s_waitcnt vmcnt(0)
	v_cmp_gt_i32_e32 vcc, v7, v0
	s_and_saveexec_b64 s[6:7], vcc
	s_cbranch_execnz .LBB2_703
	s_branch .LBB2_707
.LBB2_702:                              ;   in Loop: Header=BB2_13 Depth=1
	v_mov_b32_e32 v7, 0
	s_mov_b64 s[4:5], -1
	buffer_load_dword v0, off, s[0:3], 0 offset:160 ; 4-byte Folded Reload
	s_waitcnt vmcnt(0)
	v_cmp_gt_i32_e32 vcc, v7, v0
	s_and_saveexec_b64 s[6:7], vcc
	s_cbranch_execz .LBB2_707
.LBB2_703:                              ;   in Loop: Header=BB2_13 Depth=1
	v_cmp_lt_i32_e32 vcc, 0, v7
	s_and_saveexec_b64 s[12:13], vcc
	s_cbranch_execz .LBB2_706
; %bb.704:                              ;   in Loop: Header=BB2_13 Depth=1
	v_add_co_u32_e32 v0, vcc, v35, v4
	v_addc_co_u32_e32 v1, vcc, 0, v36, vcc
	s_mov_b64 s[14:15], 0
	s_mov_b64 s[16:17], 0
.LBB2_705:                              ;   Parent Loop BB2_13 Depth=1
                                        ; =>  This Inner Loop Header: Depth=2
	v_mov_b32_e32 v5, s17
	v_add_co_u32_e32 v2, vcc, s16, v0
	v_addc_co_u32_e32 v3, vcc, v1, v5, vcc
	global_load_ubyte v6, v[2:3], off
	v_add_co_u32_e32 v2, vcc, s16, v37
	s_add_u32 s16, s16, 1
	v_addc_co_u32_e32 v3, vcc, v38, v5, vcc
	s_addc_u32 s17, s17, 0
	v_cmp_eq_u32_e32 vcc, s16, v7
	s_or_b64 s[14:15], vcc, s[14:15]
	s_waitcnt vmcnt(0)
	global_store_byte v[2:3], v6, off
	s_andn2_b64 exec, exec, s[14:15]
	s_cbranch_execnz .LBB2_705
.LBB2_706:                              ;   in Loop: Header=BB2_13 Depth=1
	s_or_b64 exec, exec, s[12:13]
	buffer_store_dword v7, off, s[0:3], 0 offset:160 ; 4-byte Folded Spill
.LBB2_707:                              ;   in Loop: Header=BB2_13 Depth=1
	s_or_b64 exec, exec, s[6:7]
	s_xor_b64 s[6:7], s[4:5], -1
	s_mov_b64 s[4:5], 0
	s_and_saveexec_b64 s[12:13], s[6:7]
	s_xor_b64 s[6:7], exec, s[12:13]
	s_cbranch_execz .LBB2_709
; %bb.708:                              ;   in Loop: Header=BB2_13 Depth=1
	buffer_load_dword v0, off, s[0:3], 0 offset:152 ; 4-byte Folded Reload
	s_waitcnt vmcnt(0)
	v_cmp_ne_u32_e32 vcc, -8, v0
	s_and_b64 s[4:5], vcc, exec
                                        ; implicit-def: $vgpr0
                                        ; kill: killed $vgpr0
.LBB2_709:                              ;   in Loop: Header=BB2_13 Depth=1
	s_or_saveexec_b64 s[6:7], s[6:7]
	v_mov_b32_e32 v3, -8
	v_mov_b32_e32 v1, 8
	s_xor_b64 exec, exec, s[6:7]
	s_cbranch_execz .LBB2_711
; %bb.710:                              ;   in Loop: Header=BB2_13 Depth=1
	buffer_load_dword v0, off, s[0:3], 0 offset:152 ; 4-byte Folded Reload
	s_andn2_b64 s[4:5], s[4:5], exec
	v_mov_b32_e32 v3, 8
	v_mov_b32_e32 v1, -8
	s_waitcnt vmcnt(0)
	v_cmp_ne_u32_e32 vcc, 8, v0
	s_and_b64 s[12:13], vcc, exec
	s_or_b64 s[4:5], s[4:5], s[12:13]
.LBB2_711:                              ;   in Loop: Header=BB2_13 Depth=1
	s_or_b64 exec, exec, s[6:7]
	v_mov_b32_e32 v2, 11
	v_mov_b32_e32 v0, 0
	buffer_store_dword v3, off, s[0:3], 0 offset:152 ; 4-byte Folded Spill
	s_and_saveexec_b64 s[6:7], s[4:5]
	s_cbranch_execz .LBB2_713
; %bb.712:                              ;   in Loop: Header=BB2_13 Depth=1
	buffer_load_dword v0, off, s[0:3], 0 offset:156 ; 4-byte Folded Reload
	v_mov_b32_e32 v2, 0
	buffer_store_dword v1, off, s[0:3], 0 offset:152 ; 4-byte Folded Spill
.LBB2_713:                              ;   in Loop: Header=BB2_13 Depth=1
	s_or_b64 exec, exec, s[6:7]
	v_cmp_gt_i32_e32 vcc, 11, v2
	s_mov_b64 s[4:5], -1
	s_and_saveexec_b64 s[6:7], vcc
; %bb.714:                              ;   in Loop: Header=BB2_13 Depth=1
	v_cmp_eq_u32_e32 vcc, 0, v2
	s_orn2_b64 s[4:5], vcc, exec
; %bb.715:                              ;   in Loop: Header=BB2_13 Depth=1
	s_or_b64 exec, exec, s[6:7]
	s_orn2_b64 s[4:5], s[4:5], exec
	s_waitcnt vmcnt(0)
	buffer_store_dword v0, off, s[0:3], 0 offset:156 ; 4-byte Folded Spill
.LBB2_716:                              ;   in Loop: Header=BB2_13 Depth=1
	s_or_b64 exec, exec, s[10:11]
	s_and_saveexec_b64 s[6:7], s[4:5]
	s_cbranch_execz .LBB2_12
; %bb.717:                              ;   in Loop: Header=BB2_13 Depth=1
	buffer_load_dword v1, off, s[0:3], 0 offset:156 ; 4-byte Folded Reload
	v_lshlrev_b32_e32 v0, 2, v58
	v_and_b32_e32 v0, 0x100, v0
	s_mov_b64 s[4:5], -1
	s_waitcnt vmcnt(0)
	ds_bpermute_b32 v1, v0, v1
	s_waitcnt lgkmcnt(0)
	v_cmp_ne_u32_e32 vcc, 0, v1
	buffer_store_dword v1, off, s[0:3], 0 offset:156 ; 4-byte Folded Spill
	s_and_saveexec_b64 s[8:9], vcc
	s_cbranch_execz .LBB2_11
; %bb.718:                              ;   in Loop: Header=BB2_13 Depth=1
	buffer_load_dword v1, off, s[0:3], 0 offset:152 ; 4-byte Folded Reload
	s_waitcnt vmcnt(0)
	ds_bpermute_b32 v1, v0, v1
	buffer_load_dword v0, off, s[0:3], 0 offset:184 ; 4-byte Folded Reload
	s_waitcnt lgkmcnt(0)
	v_add_u32_e32 v4, v1, v4
	v_cmp_gt_i32_e32 vcc, 21, v4
	buffer_store_dword v1, off, s[0:3], 0 offset:152 ; 4-byte Folded Spill
	s_waitcnt vmcnt(1)
	v_cmp_gt_i32_e64 s[4:5], v4, v0
	s_or_b64 s[4:5], vcc, s[4:5]
	s_orn2_b64 s[4:5], s[4:5], exec
	s_branch .LBB2_11
.LBB2_719:
	s_or_b64 exec, exec, s[62:63]
	buffer_load_dword v0, off, s[0:3], 0 offset:160 ; 4-byte Folded Reload
	buffer_load_dword v17, off, s[0:3], 0 offset:188 ; 4-byte Folded Reload
	v_readlane_b32 s22, v63, 0
	v_readlane_b32 s23, v63, 1
	s_waitcnt vmcnt(0)
	v_max_i32_e32 v5, 0, v0
.LBB2_720:
	s_or_b64 exec, exec, s[60:61]
	buffer_load_dword v0, off, s[0:3], 0 offset:72 ; 4-byte Folded Reload
	buffer_load_dword v1, off, s[0:3], 0 offset:76 ; 4-byte Folded Reload
	s_waitcnt vmcnt(0)
	v_cmp_eq_u32_e32 vcc, 0, v0
	s_and_b64 exec, exec, vcc
	s_cbranch_execz .LBB2_722
; %bb.721:
	global_store_dword v17, v5, s[22:23]
.LBB2_722:
	s_endpgm
	.section	.rodata,"a",@progbits
	.p2align	6, 0x0
	.amdhsa_kernel _Z22iterative_walks_kernelILi64EEvPjS0_PcS1_S1_S0_S0_PdP6loc_htS0_P11loc_ht_boolijS0_llliijS1_S1_S0_i
		.amdhsa_group_segment_fixed_size 16384
		.amdhsa_private_segment_fixed_size 208
		.amdhsa_kernarg_size 432
		.amdhsa_user_sgpr_count 8
		.amdhsa_user_sgpr_private_segment_buffer 1
		.amdhsa_user_sgpr_dispatch_ptr 1
		.amdhsa_user_sgpr_queue_ptr 0
		.amdhsa_user_sgpr_kernarg_segment_ptr 1
		.amdhsa_user_sgpr_dispatch_id 0
		.amdhsa_user_sgpr_flat_scratch_init 0
		.amdhsa_user_sgpr_private_segment_size 0
		.amdhsa_uses_dynamic_stack 0
		.amdhsa_system_sgpr_private_segment_wavefront_offset 1
		.amdhsa_system_sgpr_workgroup_id_x 1
		.amdhsa_system_sgpr_workgroup_id_y 0
		.amdhsa_system_sgpr_workgroup_id_z 0
		.amdhsa_system_sgpr_workgroup_info 0
		.amdhsa_system_vgpr_workitem_id 2
		.amdhsa_next_free_vgpr 64
		.amdhsa_next_free_sgpr 100
		.amdhsa_reserve_vcc 1
		.amdhsa_reserve_flat_scratch 0
		.amdhsa_float_round_mode_32 0
		.amdhsa_float_round_mode_16_64 0
		.amdhsa_float_denorm_mode_32 3
		.amdhsa_float_denorm_mode_16_64 3
		.amdhsa_dx10_clamp 1
		.amdhsa_ieee_mode 1
		.amdhsa_fp16_overflow 0
		.amdhsa_exception_fp_ieee_invalid_op 0
		.amdhsa_exception_fp_denorm_src 0
		.amdhsa_exception_fp_ieee_div_zero 0
		.amdhsa_exception_fp_ieee_overflow 0
		.amdhsa_exception_fp_ieee_underflow 0
		.amdhsa_exception_fp_ieee_inexact 0
		.amdhsa_exception_int_div_zero 0
	.end_amdhsa_kernel
	.section	.text._Z22iterative_walks_kernelILi64EEvPjS0_PcS1_S1_S0_S0_PdP6loc_htS0_P11loc_ht_boolijS0_llliijS1_S1_S0_i,"axG",@progbits,_Z22iterative_walks_kernelILi64EEvPjS0_PcS1_S1_S0_S0_PdP6loc_htS0_P11loc_ht_boolijS0_llliijS1_S1_S0_i,comdat
.Lfunc_end2:
	.size	_Z22iterative_walks_kernelILi64EEvPjS0_PcS1_S1_S0_S0_PdP6loc_htS0_P11loc_ht_boolijS0_llliijS1_S1_S0_i, .Lfunc_end2-_Z22iterative_walks_kernelILi64EEvPjS0_PcS1_S1_S0_S0_PdP6loc_htS0_P11loc_ht_boolijS0_llliijS1_S1_S0_i
                                        ; -- End function
	.set _Z22iterative_walks_kernelILi64EEvPjS0_PcS1_S1_S0_S0_PdP6loc_htS0_P11loc_ht_boolijS0_llliijS1_S1_S0_i.num_vgpr, max(64, .L_Z13ht_get_atomicP6loc_ht9cstr_typej.num_vgpr)
	.set _Z22iterative_walks_kernelILi64EEvPjS0_PcS1_S1_S0_S0_PdP6loc_htS0_P11loc_ht_boolijS0_llliijS1_S1_S0_i.num_agpr, max(0, .L_Z13ht_get_atomicP6loc_ht9cstr_typej.num_agpr)
	.set _Z22iterative_walks_kernelILi64EEvPjS0_PcS1_S1_S0_S0_PdP6loc_htS0_P11loc_ht_boolijS0_llliijS1_S1_S0_i.numbered_sgpr, max(100, .L_Z13ht_get_atomicP6loc_ht9cstr_typej.numbered_sgpr)
	.set _Z22iterative_walks_kernelILi64EEvPjS0_PcS1_S1_S0_S0_PdP6loc_htS0_P11loc_ht_boolijS0_llliijS1_S1_S0_i.num_named_barrier, max(0, .L_Z13ht_get_atomicP6loc_ht9cstr_typej.num_named_barrier)
	.set _Z22iterative_walks_kernelILi64EEvPjS0_PcS1_S1_S0_S0_PdP6loc_htS0_P11loc_ht_boolijS0_llliijS1_S1_S0_i.private_seg_size, 208+max(.L_Z13ht_get_atomicP6loc_ht9cstr_typej.private_seg_size)
	.set _Z22iterative_walks_kernelILi64EEvPjS0_PcS1_S1_S0_S0_PdP6loc_htS0_P11loc_ht_boolijS0_llliijS1_S1_S0_i.uses_vcc, or(1, .L_Z13ht_get_atomicP6loc_ht9cstr_typej.uses_vcc)
	.set _Z22iterative_walks_kernelILi64EEvPjS0_PcS1_S1_S0_S0_PdP6loc_htS0_P11loc_ht_boolijS0_llliijS1_S1_S0_i.uses_flat_scratch, or(0, .L_Z13ht_get_atomicP6loc_ht9cstr_typej.uses_flat_scratch)
	.set _Z22iterative_walks_kernelILi64EEvPjS0_PcS1_S1_S0_S0_PdP6loc_htS0_P11loc_ht_boolijS0_llliijS1_S1_S0_i.has_dyn_sized_stack, or(0, .L_Z13ht_get_atomicP6loc_ht9cstr_typej.has_dyn_sized_stack)
	.set _Z22iterative_walks_kernelILi64EEvPjS0_PcS1_S1_S0_S0_PdP6loc_htS0_P11loc_ht_boolijS0_llliijS1_S1_S0_i.has_recursion, or(0, .L_Z13ht_get_atomicP6loc_ht9cstr_typej.has_recursion)
	.set _Z22iterative_walks_kernelILi64EEvPjS0_PcS1_S1_S0_S0_PdP6loc_htS0_P11loc_ht_boolijS0_llliijS1_S1_S0_i.has_indirect_call, or(0, .L_Z13ht_get_atomicP6loc_ht9cstr_typej.has_indirect_call)
	.section	.AMDGPU.csdata,"",@progbits
; Kernel info:
; codeLenInByte = 22660
; TotalNumSgprs: 104
; NumVgprs: 64
; ScratchSize: 208
; MemoryBound: 0
; FloatMode: 240
; IeeeMode: 1
; LDSByteSize: 16384 bytes/workgroup (compile time only)
; SGPRBlocks: 12
; VGPRBlocks: 15
; NumSGPRsForWavesPerEU: 104
; NumVGPRsForWavesPerEU: 64
; Occupancy: 4
; WaveLimiterHint : 1
; COMPUTE_PGM_RSRC2:SCRATCH_EN: 1
; COMPUTE_PGM_RSRC2:USER_SGPR: 8
; COMPUTE_PGM_RSRC2:TRAP_HANDLER: 0
; COMPUTE_PGM_RSRC2:TGID_X_EN: 1
; COMPUTE_PGM_RSRC2:TGID_Y_EN: 0
; COMPUTE_PGM_RSRC2:TGID_Z_EN: 0
; COMPUTE_PGM_RSRC2:TIDIG_COMP_CNT: 2
	.section	.AMDGPU.gpr_maximums,"",@progbits
	.set amdgpu.max_num_vgpr, 51
	.set amdgpu.max_num_agpr, 0
	.set amdgpu.max_num_sgpr, 45
	.section	.AMDGPU.csdata,"",@progbits
	.type	.str.2,@object                  ; @.str.2
	.section	.rodata.str1.1,"aMS",@progbits,1
.str.2:
	.asciz	"*****end reached, hashtable full*****\n"
	.size	.str.2, 39

	.type	.str.3,@object                  ; @.str.3
.str.3:
	.asciz	"*********ASSERTION FAILURE IN COUNT_MERS****"
	.size	.str.3, 45

	.type	.str.4,@object                  ; @.str.4
.str.4:
	.asciz	"******* ASSERTION FAILED IN sort_merbase************"
	.size	.str.4, 53

	.type	__hip_cuid_fea4a8f09bcd671c,@object ; @__hip_cuid_fea4a8f09bcd671c
	.section	.bss,"aw",@nobits
	.globl	__hip_cuid_fea4a8f09bcd671c
__hip_cuid_fea4a8f09bcd671c:
	.byte	0                               ; 0x0
	.size	__hip_cuid_fea4a8f09bcd671c, 1

	.ident	"AMD clang version 22.0.0git (https://github.com/RadeonOpenCompute/llvm-project roc-7.2.4 26084 f58b06dce1f9c15707c5f808fd002e18c2accf7e)"
	.section	".note.GNU-stack","",@progbits
	.addrsig
	.addrsig_sym __hip_cuid_fea4a8f09bcd671c
	.amdgpu_metadata
---
amdhsa.kernels:
  - .args:
      - .address_space:  global
        .offset:         0
        .size:           8
        .value_kind:     global_buffer
      - .address_space:  global
        .offset:         8
        .size:           8
        .value_kind:     global_buffer
      - .address_space:  global
        .offset:         16
        .size:           8
        .value_kind:     global_buffer
      - .address_space:  global
        .offset:         24
        .size:           8
        .value_kind:     global_buffer
      - .address_space:  global
        .offset:         32
        .size:           8
        .value_kind:     global_buffer
      - .address_space:  global
        .offset:         40
        .size:           8
        .value_kind:     global_buffer
      - .address_space:  global
        .offset:         48
        .size:           8
        .value_kind:     global_buffer
      - .address_space:  global
        .offset:         56
        .size:           8
        .value_kind:     global_buffer
      - .address_space:  global
        .offset:         64
        .size:           8
        .value_kind:     global_buffer
      - .address_space:  global
        .offset:         72
        .size:           8
        .value_kind:     global_buffer
      - .address_space:  global
        .offset:         80
        .size:           8
        .value_kind:     global_buffer
      - .offset:         88
        .size:           4
        .value_kind:     by_value
      - .offset:         92
        .size:           4
        .value_kind:     by_value
      - .address_space:  global
        .offset:         96
        .size:           8
        .value_kind:     global_buffer
      - .offset:         104
        .size:           8
        .value_kind:     by_value
      - .offset:         112
        .size:           8
        .value_kind:     by_value
      - .offset:         120
        .size:           8
        .value_kind:     by_value
      - .offset:         128
        .size:           4
        .value_kind:     by_value
      - .offset:         132
        .size:           4
        .value_kind:     by_value
      - .offset:         136
        .size:           4
        .value_kind:     by_value
      - .address_space:  global
        .offset:         144
        .size:           8
        .value_kind:     global_buffer
      - .address_space:  global
        .offset:         152
        .size:           8
        .value_kind:     global_buffer
      - .address_space:  global
        .offset:         160
        .size:           8
        .value_kind:     global_buffer
      - .offset:         168
        .size:           4
        .value_kind:     by_value
      - .offset:         176
        .size:           4
        .value_kind:     hidden_block_count_x
      - .offset:         180
        .size:           4
        .value_kind:     hidden_block_count_y
      - .offset:         184
        .size:           4
        .value_kind:     hidden_block_count_z
      - .offset:         188
        .size:           2
        .value_kind:     hidden_group_size_x
      - .offset:         190
        .size:           2
        .value_kind:     hidden_group_size_y
      - .offset:         192
        .size:           2
        .value_kind:     hidden_group_size_z
      - .offset:         194
        .size:           2
        .value_kind:     hidden_remainder_x
      - .offset:         196
        .size:           2
        .value_kind:     hidden_remainder_y
      - .offset:         198
        .size:           2
        .value_kind:     hidden_remainder_z
      - .offset:         216
        .size:           8
        .value_kind:     hidden_global_offset_x
      - .offset:         224
        .size:           8
        .value_kind:     hidden_global_offset_y
      - .offset:         232
        .size:           8
        .value_kind:     hidden_global_offset_z
      - .offset:         240
        .size:           2
        .value_kind:     hidden_grid_dims
      - .offset:         256
        .size:           8
        .value_kind:     hidden_hostcall_buffer
    .group_segment_fixed_size: 16384
    .kernarg_segment_align: 8
    .kernarg_segment_size: 432
    .language:       OpenCL C
    .language_version:
      - 2
      - 0
    .max_flat_workgroup_size: 1024
    .name:           _Z22iterative_walks_kernelILi32EEvPjS0_PcS1_S1_S0_S0_PdP6loc_htS0_P11loc_ht_boolijS0_llliijS1_S1_S0_i
    .private_segment_fixed_size: 208
    .sgpr_count:     104
    .sgpr_spill_count: 2
    .symbol:         _Z22iterative_walks_kernelILi32EEvPjS0_PcS1_S1_S0_S0_PdP6loc_htS0_P11loc_ht_boolijS0_llliijS1_S1_S0_i.kd
    .uniform_work_group_size: 1
    .uses_dynamic_stack: false
    .vgpr_count:     64
    .vgpr_spill_count: 51
    .wavefront_size: 64
  - .args:
      - .address_space:  global
        .offset:         0
        .size:           8
        .value_kind:     global_buffer
      - .address_space:  global
        .offset:         8
        .size:           8
        .value_kind:     global_buffer
      - .address_space:  global
        .offset:         16
        .size:           8
        .value_kind:     global_buffer
      - .address_space:  global
        .offset:         24
        .size:           8
        .value_kind:     global_buffer
      - .address_space:  global
        .offset:         32
        .size:           8
        .value_kind:     global_buffer
      - .address_space:  global
        .offset:         40
        .size:           8
        .value_kind:     global_buffer
      - .address_space:  global
        .offset:         48
        .size:           8
        .value_kind:     global_buffer
      - .address_space:  global
        .offset:         56
        .size:           8
        .value_kind:     global_buffer
      - .address_space:  global
        .offset:         64
        .size:           8
        .value_kind:     global_buffer
      - .address_space:  global
        .offset:         72
        .size:           8
        .value_kind:     global_buffer
      - .address_space:  global
        .offset:         80
        .size:           8
        .value_kind:     global_buffer
      - .offset:         88
        .size:           4
        .value_kind:     by_value
      - .offset:         92
        .size:           4
        .value_kind:     by_value
      - .address_space:  global
        .offset:         96
        .size:           8
        .value_kind:     global_buffer
      - .offset:         104
        .size:           8
        .value_kind:     by_value
      - .offset:         112
        .size:           8
        .value_kind:     by_value
      - .offset:         120
        .size:           8
        .value_kind:     by_value
      - .offset:         128
        .size:           4
        .value_kind:     by_value
      - .offset:         132
        .size:           4
        .value_kind:     by_value
      - .offset:         136
        .size:           4
        .value_kind:     by_value
      - .address_space:  global
        .offset:         144
        .size:           8
        .value_kind:     global_buffer
      - .address_space:  global
        .offset:         152
        .size:           8
        .value_kind:     global_buffer
      - .address_space:  global
        .offset:         160
        .size:           8
        .value_kind:     global_buffer
      - .offset:         168
        .size:           4
        .value_kind:     by_value
      - .offset:         176
        .size:           4
        .value_kind:     hidden_block_count_x
      - .offset:         180
        .size:           4
        .value_kind:     hidden_block_count_y
      - .offset:         184
        .size:           4
        .value_kind:     hidden_block_count_z
      - .offset:         188
        .size:           2
        .value_kind:     hidden_group_size_x
      - .offset:         190
        .size:           2
        .value_kind:     hidden_group_size_y
      - .offset:         192
        .size:           2
        .value_kind:     hidden_group_size_z
      - .offset:         194
        .size:           2
        .value_kind:     hidden_remainder_x
      - .offset:         196
        .size:           2
        .value_kind:     hidden_remainder_y
      - .offset:         198
        .size:           2
        .value_kind:     hidden_remainder_z
      - .offset:         216
        .size:           8
        .value_kind:     hidden_global_offset_x
      - .offset:         224
        .size:           8
        .value_kind:     hidden_global_offset_y
      - .offset:         232
        .size:           8
        .value_kind:     hidden_global_offset_z
      - .offset:         240
        .size:           2
        .value_kind:     hidden_grid_dims
      - .offset:         256
        .size:           8
        .value_kind:     hidden_hostcall_buffer
    .group_segment_fixed_size: 16384
    .kernarg_segment_align: 8
    .kernarg_segment_size: 432
    .language:       OpenCL C
    .language_version:
      - 2
      - 0
    .max_flat_workgroup_size: 1024
    .name:           _Z22iterative_walks_kernelILi64EEvPjS0_PcS1_S1_S0_S0_PdP6loc_htS0_P11loc_ht_boolijS0_llliijS1_S1_S0_i
    .private_segment_fixed_size: 208
    .sgpr_count:     104
    .sgpr_spill_count: 2
    .symbol:         _Z22iterative_walks_kernelILi64EEvPjS0_PcS1_S1_S0_S0_PdP6loc_htS0_P11loc_ht_boolijS0_llliijS1_S1_S0_i.kd
    .uniform_work_group_size: 1
    .uses_dynamic_stack: false
    .vgpr_count:     64
    .vgpr_spill_count: 51
    .wavefront_size: 64
amdhsa.target:   amdgcn-amd-amdhsa--gfx906
amdhsa.version:
  - 1
  - 2
...

	.end_amdgpu_metadata
